;; amdgpu-corpus repo=ROCm/rocFFT kind=compiled arch=gfx1201 opt=O3
	.text
	.amdgcn_target "amdgcn-amd-amdhsa--gfx1201"
	.amdhsa_code_object_version 6
	.protected	fft_rtc_fwd_len1904_factors_17_2_2_7_4_wgs_119_tpt_119_halfLds_half_ip_CI_unitstride_sbrr_C2R_dirReg ; -- Begin function fft_rtc_fwd_len1904_factors_17_2_2_7_4_wgs_119_tpt_119_halfLds_half_ip_CI_unitstride_sbrr_C2R_dirReg
	.globl	fft_rtc_fwd_len1904_factors_17_2_2_7_4_wgs_119_tpt_119_halfLds_half_ip_CI_unitstride_sbrr_C2R_dirReg
	.p2align	8
	.type	fft_rtc_fwd_len1904_factors_17_2_2_7_4_wgs_119_tpt_119_halfLds_half_ip_CI_unitstride_sbrr_C2R_dirReg,@function
fft_rtc_fwd_len1904_factors_17_2_2_7_4_wgs_119_tpt_119_halfLds_half_ip_CI_unitstride_sbrr_C2R_dirReg: ; @fft_rtc_fwd_len1904_factors_17_2_2_7_4_wgs_119_tpt_119_halfLds_half_ip_CI_unitstride_sbrr_C2R_dirReg
; %bb.0:
	s_clause 0x2
	s_load_b128 s[4:7], s[0:1], 0x0
	s_load_b64 s[8:9], s[0:1], 0x50
	s_load_b64 s[10:11], s[0:1], 0x18
	v_mul_u32_u24_e32 v1, 0x227, v0
	v_mov_b32_e32 v3, 0
	s_delay_alu instid0(VALU_DEP_2) | instskip(NEXT) | instid1(VALU_DEP_1)
	v_lshrrev_b32_e32 v1, 16, v1
	v_add_nc_u32_e32 v5, ttmp9, v1
	v_mov_b32_e32 v1, 0
	v_mov_b32_e32 v2, 0
	;; [unrolled: 1-line block ×3, first 2 shown]
	s_wait_kmcnt 0x0
	v_cmp_lt_u64_e64 s2, s[6:7], 2
	s_delay_alu instid0(VALU_DEP_1)
	s_and_b32 vcc_lo, exec_lo, s2
	s_cbranch_vccnz .LBB0_8
; %bb.1:
	s_load_b64 s[2:3], s[0:1], 0x10
	v_mov_b32_e32 v1, 0
	v_mov_b32_e32 v2, 0
	s_add_nc_u64 s[12:13], s[10:11], 8
	s_mov_b64 s[14:15], 1
	s_wait_kmcnt 0x0
	s_add_nc_u64 s[16:17], s[2:3], 8
	s_mov_b32 s3, 0
.LBB0_2:                                ; =>This Inner Loop Header: Depth=1
	s_load_b64 s[18:19], s[16:17], 0x0
                                        ; implicit-def: $vgpr7_vgpr8
	s_mov_b32 s2, exec_lo
	s_wait_kmcnt 0x0
	v_or_b32_e32 v4, s19, v6
	s_delay_alu instid0(VALU_DEP_1)
	v_cmpx_ne_u64_e32 0, v[3:4]
	s_wait_alu 0xfffe
	s_xor_b32 s20, exec_lo, s2
	s_cbranch_execz .LBB0_4
; %bb.3:                                ;   in Loop: Header=BB0_2 Depth=1
	s_cvt_f32_u32 s2, s18
	s_cvt_f32_u32 s21, s19
	s_sub_nc_u64 s[24:25], 0, s[18:19]
	s_wait_alu 0xfffe
	s_delay_alu instid0(SALU_CYCLE_1) | instskip(SKIP_1) | instid1(SALU_CYCLE_2)
	s_fmamk_f32 s2, s21, 0x4f800000, s2
	s_wait_alu 0xfffe
	v_s_rcp_f32 s2, s2
	s_delay_alu instid0(TRANS32_DEP_1) | instskip(SKIP_1) | instid1(SALU_CYCLE_2)
	s_mul_f32 s2, s2, 0x5f7ffffc
	s_wait_alu 0xfffe
	s_mul_f32 s21, s2, 0x2f800000
	s_wait_alu 0xfffe
	s_delay_alu instid0(SALU_CYCLE_2) | instskip(SKIP_1) | instid1(SALU_CYCLE_2)
	s_trunc_f32 s21, s21
	s_wait_alu 0xfffe
	s_fmamk_f32 s2, s21, 0xcf800000, s2
	s_cvt_u32_f32 s23, s21
	s_wait_alu 0xfffe
	s_delay_alu instid0(SALU_CYCLE_1) | instskip(SKIP_1) | instid1(SALU_CYCLE_2)
	s_cvt_u32_f32 s22, s2
	s_wait_alu 0xfffe
	s_mul_u64 s[26:27], s[24:25], s[22:23]
	s_wait_alu 0xfffe
	s_mul_hi_u32 s29, s22, s27
	s_mul_i32 s28, s22, s27
	s_mul_hi_u32 s2, s22, s26
	s_mul_i32 s30, s23, s26
	s_wait_alu 0xfffe
	s_add_nc_u64 s[28:29], s[2:3], s[28:29]
	s_mul_hi_u32 s21, s23, s26
	s_mul_hi_u32 s31, s23, s27
	s_add_co_u32 s2, s28, s30
	s_wait_alu 0xfffe
	s_add_co_ci_u32 s2, s29, s21
	s_mul_i32 s26, s23, s27
	s_add_co_ci_u32 s27, s31, 0
	s_wait_alu 0xfffe
	s_add_nc_u64 s[26:27], s[2:3], s[26:27]
	s_wait_alu 0xfffe
	v_add_co_u32 v4, s2, s22, s26
	s_delay_alu instid0(VALU_DEP_1) | instskip(SKIP_1) | instid1(VALU_DEP_1)
	s_cmp_lg_u32 s2, 0
	s_add_co_ci_u32 s23, s23, s27
	v_readfirstlane_b32 s22, v4
	s_wait_alu 0xfffe
	s_delay_alu instid0(VALU_DEP_1)
	s_mul_u64 s[24:25], s[24:25], s[22:23]
	s_wait_alu 0xfffe
	s_mul_hi_u32 s27, s22, s25
	s_mul_i32 s26, s22, s25
	s_mul_hi_u32 s2, s22, s24
	s_mul_i32 s28, s23, s24
	s_wait_alu 0xfffe
	s_add_nc_u64 s[26:27], s[2:3], s[26:27]
	s_mul_hi_u32 s21, s23, s24
	s_mul_hi_u32 s22, s23, s25
	s_wait_alu 0xfffe
	s_add_co_u32 s2, s26, s28
	s_add_co_ci_u32 s2, s27, s21
	s_mul_i32 s24, s23, s25
	s_add_co_ci_u32 s25, s22, 0
	s_wait_alu 0xfffe
	s_add_nc_u64 s[24:25], s[2:3], s[24:25]
	s_wait_alu 0xfffe
	v_add_co_u32 v4, s2, v4, s24
	s_delay_alu instid0(VALU_DEP_1) | instskip(SKIP_1) | instid1(VALU_DEP_1)
	s_cmp_lg_u32 s2, 0
	s_add_co_ci_u32 s2, s23, s25
	v_mul_hi_u32 v13, v5, v4
	s_wait_alu 0xfffe
	v_mad_co_u64_u32 v[7:8], null, v5, s2, 0
	v_mad_co_u64_u32 v[9:10], null, v6, v4, 0
	;; [unrolled: 1-line block ×3, first 2 shown]
	s_delay_alu instid0(VALU_DEP_3) | instskip(SKIP_1) | instid1(VALU_DEP_4)
	v_add_co_u32 v4, vcc_lo, v13, v7
	s_wait_alu 0xfffd
	v_add_co_ci_u32_e32 v7, vcc_lo, 0, v8, vcc_lo
	s_delay_alu instid0(VALU_DEP_2) | instskip(SKIP_1) | instid1(VALU_DEP_2)
	v_add_co_u32 v4, vcc_lo, v4, v9
	s_wait_alu 0xfffd
	v_add_co_ci_u32_e32 v4, vcc_lo, v7, v10, vcc_lo
	s_wait_alu 0xfffd
	v_add_co_ci_u32_e32 v7, vcc_lo, 0, v12, vcc_lo
	s_delay_alu instid0(VALU_DEP_2) | instskip(SKIP_1) | instid1(VALU_DEP_2)
	v_add_co_u32 v4, vcc_lo, v4, v11
	s_wait_alu 0xfffd
	v_add_co_ci_u32_e32 v9, vcc_lo, 0, v7, vcc_lo
	s_delay_alu instid0(VALU_DEP_2) | instskip(SKIP_1) | instid1(VALU_DEP_3)
	v_mul_lo_u32 v10, s19, v4
	v_mad_co_u64_u32 v[7:8], null, s18, v4, 0
	v_mul_lo_u32 v11, s18, v9
	s_delay_alu instid0(VALU_DEP_2) | instskip(NEXT) | instid1(VALU_DEP_2)
	v_sub_co_u32 v7, vcc_lo, v5, v7
	v_add3_u32 v8, v8, v11, v10
	s_delay_alu instid0(VALU_DEP_1) | instskip(SKIP_1) | instid1(VALU_DEP_1)
	v_sub_nc_u32_e32 v10, v6, v8
	s_wait_alu 0xfffd
	v_subrev_co_ci_u32_e64 v10, s2, s19, v10, vcc_lo
	v_add_co_u32 v11, s2, v4, 2
	s_wait_alu 0xf1ff
	v_add_co_ci_u32_e64 v12, s2, 0, v9, s2
	v_sub_co_u32 v13, s2, v7, s18
	v_sub_co_ci_u32_e32 v8, vcc_lo, v6, v8, vcc_lo
	s_wait_alu 0xf1ff
	v_subrev_co_ci_u32_e64 v10, s2, 0, v10, s2
	s_delay_alu instid0(VALU_DEP_3) | instskip(NEXT) | instid1(VALU_DEP_3)
	v_cmp_le_u32_e32 vcc_lo, s18, v13
	v_cmp_eq_u32_e64 s2, s19, v8
	s_wait_alu 0xfffd
	v_cndmask_b32_e64 v13, 0, -1, vcc_lo
	v_cmp_le_u32_e32 vcc_lo, s19, v10
	s_wait_alu 0xfffd
	v_cndmask_b32_e64 v14, 0, -1, vcc_lo
	v_cmp_le_u32_e32 vcc_lo, s18, v7
	;; [unrolled: 3-line block ×3, first 2 shown]
	s_wait_alu 0xfffd
	v_cndmask_b32_e64 v15, 0, -1, vcc_lo
	v_cmp_eq_u32_e32 vcc_lo, s19, v10
	s_wait_alu 0xf1ff
	s_delay_alu instid0(VALU_DEP_2)
	v_cndmask_b32_e64 v7, v15, v7, s2
	s_wait_alu 0xfffd
	v_cndmask_b32_e32 v10, v14, v13, vcc_lo
	v_add_co_u32 v13, vcc_lo, v4, 1
	s_wait_alu 0xfffd
	v_add_co_ci_u32_e32 v14, vcc_lo, 0, v9, vcc_lo
	s_delay_alu instid0(VALU_DEP_3) | instskip(SKIP_2) | instid1(VALU_DEP_3)
	v_cmp_ne_u32_e32 vcc_lo, 0, v10
	s_wait_alu 0xfffd
	v_cndmask_b32_e32 v10, v13, v11, vcc_lo
	v_cndmask_b32_e32 v8, v14, v12, vcc_lo
	v_cmp_ne_u32_e32 vcc_lo, 0, v7
	s_wait_alu 0xfffd
	s_delay_alu instid0(VALU_DEP_2)
	v_dual_cndmask_b32 v7, v4, v10 :: v_dual_cndmask_b32 v8, v9, v8
.LBB0_4:                                ;   in Loop: Header=BB0_2 Depth=1
	s_wait_alu 0xfffe
	s_and_not1_saveexec_b32 s2, s20
	s_cbranch_execz .LBB0_6
; %bb.5:                                ;   in Loop: Header=BB0_2 Depth=1
	v_cvt_f32_u32_e32 v4, s18
	s_sub_co_i32 s20, 0, s18
	s_delay_alu instid0(VALU_DEP_1) | instskip(NEXT) | instid1(TRANS32_DEP_1)
	v_rcp_iflag_f32_e32 v4, v4
	v_mul_f32_e32 v4, 0x4f7ffffe, v4
	s_delay_alu instid0(VALU_DEP_1) | instskip(SKIP_1) | instid1(VALU_DEP_1)
	v_cvt_u32_f32_e32 v4, v4
	s_wait_alu 0xfffe
	v_mul_lo_u32 v7, s20, v4
	s_delay_alu instid0(VALU_DEP_1) | instskip(NEXT) | instid1(VALU_DEP_1)
	v_mul_hi_u32 v7, v4, v7
	v_add_nc_u32_e32 v4, v4, v7
	s_delay_alu instid0(VALU_DEP_1) | instskip(NEXT) | instid1(VALU_DEP_1)
	v_mul_hi_u32 v4, v5, v4
	v_mul_lo_u32 v7, v4, s18
	v_add_nc_u32_e32 v8, 1, v4
	s_delay_alu instid0(VALU_DEP_2) | instskip(NEXT) | instid1(VALU_DEP_1)
	v_sub_nc_u32_e32 v7, v5, v7
	v_subrev_nc_u32_e32 v9, s18, v7
	v_cmp_le_u32_e32 vcc_lo, s18, v7
	s_wait_alu 0xfffd
	s_delay_alu instid0(VALU_DEP_2) | instskip(NEXT) | instid1(VALU_DEP_1)
	v_dual_cndmask_b32 v7, v7, v9 :: v_dual_cndmask_b32 v4, v4, v8
	v_cmp_le_u32_e32 vcc_lo, s18, v7
	s_delay_alu instid0(VALU_DEP_2) | instskip(SKIP_1) | instid1(VALU_DEP_1)
	v_add_nc_u32_e32 v8, 1, v4
	s_wait_alu 0xfffd
	v_dual_cndmask_b32 v7, v4, v8 :: v_dual_mov_b32 v8, v3
.LBB0_6:                                ;   in Loop: Header=BB0_2 Depth=1
	s_wait_alu 0xfffe
	s_or_b32 exec_lo, exec_lo, s2
	s_load_b64 s[20:21], s[12:13], 0x0
	s_delay_alu instid0(VALU_DEP_1)
	v_mul_lo_u32 v4, v8, s18
	v_mul_lo_u32 v11, v7, s19
	v_mad_co_u64_u32 v[9:10], null, v7, s18, 0
	s_add_nc_u64 s[14:15], s[14:15], 1
	s_add_nc_u64 s[12:13], s[12:13], 8
	s_wait_alu 0xfffe
	v_cmp_ge_u64_e64 s2, s[14:15], s[6:7]
	s_add_nc_u64 s[16:17], s[16:17], 8
	s_delay_alu instid0(VALU_DEP_2) | instskip(NEXT) | instid1(VALU_DEP_3)
	v_add3_u32 v4, v10, v11, v4
	v_sub_co_u32 v5, vcc_lo, v5, v9
	s_wait_alu 0xfffd
	s_delay_alu instid0(VALU_DEP_2) | instskip(SKIP_3) | instid1(VALU_DEP_2)
	v_sub_co_ci_u32_e32 v4, vcc_lo, v6, v4, vcc_lo
	s_and_b32 vcc_lo, exec_lo, s2
	s_wait_kmcnt 0x0
	v_mul_lo_u32 v6, s21, v5
	v_mul_lo_u32 v4, s20, v4
	v_mad_co_u64_u32 v[1:2], null, s20, v5, v[1:2]
	s_delay_alu instid0(VALU_DEP_1)
	v_add3_u32 v2, v6, v2, v4
	s_wait_alu 0xfffe
	s_cbranch_vccnz .LBB0_9
; %bb.7:                                ;   in Loop: Header=BB0_2 Depth=1
	v_dual_mov_b32 v5, v7 :: v_dual_mov_b32 v6, v8
	s_branch .LBB0_2
.LBB0_8:
	v_dual_mov_b32 v8, v6 :: v_dual_mov_b32 v7, v5
.LBB0_9:
	s_lshl_b64 s[2:3], s[6:7], 3
	v_mul_hi_u32 v5, 0x226b903, v0
	s_wait_alu 0xfffe
	s_add_nc_u64 s[2:3], s[10:11], s[2:3]
	s_load_b64 s[2:3], s[2:3], 0x0
	s_load_b64 s[0:1], s[0:1], 0x20
	s_wait_kmcnt 0x0
	v_mul_lo_u32 v3, s2, v8
	v_mul_lo_u32 v4, s3, v7
	v_mad_co_u64_u32 v[1:2], null, s2, v7, v[1:2]
	v_cmp_gt_u64_e32 vcc_lo, s[0:1], v[7:8]
	s_delay_alu instid0(VALU_DEP_2) | instskip(SKIP_1) | instid1(VALU_DEP_2)
	v_add3_u32 v2, v4, v2, v3
	v_mul_u32_u24_e32 v4, 0x77, v5
	v_lshlrev_b64_e32 v[2:3], 2, v[1:2]
	s_delay_alu instid0(VALU_DEP_2)
	v_sub_nc_u32_e32 v0, v0, v4
	s_and_saveexec_b32 s1, vcc_lo
	s_cbranch_execz .LBB0_13
; %bb.10:
	v_mov_b32_e32 v1, 0
	s_delay_alu instid0(VALU_DEP_3) | instskip(SKIP_2) | instid1(VALU_DEP_3)
	v_add_co_u32 v4, s0, s8, v2
	s_wait_alu 0xf1ff
	v_add_co_ci_u32_e64 v5, s0, s9, v3, s0
	v_lshlrev_b64_e32 v[6:7], 2, v[0:1]
	s_mov_b32 s2, exec_lo
	s_delay_alu instid0(VALU_DEP_1) | instskip(SKIP_1) | instid1(VALU_DEP_2)
	v_add_co_u32 v6, s0, v4, v6
	s_wait_alu 0xf1ff
	v_add_co_ci_u32_e64 v7, s0, v5, v7, s0
	s_clause 0xf
	global_load_b32 v8, v[6:7], off
	global_load_b32 v9, v[6:7], off offset:476
	global_load_b32 v10, v[6:7], off offset:952
	;; [unrolled: 1-line block ×15, first 2 shown]
	v_lshl_add_u32 v7, v0, 2, 0
	s_delay_alu instid0(VALU_DEP_1)
	v_add_nc_u32_e32 v24, 0x600, v7
	v_add_nc_u32_e32 v23, 0x200, v7
	;; [unrolled: 1-line block ×7, first 2 shown]
	s_wait_loadcnt 0xe
	ds_store_2addr_b32 v7, v8, v9 offset1:119
	s_wait_loadcnt 0xc
	ds_store_2addr_b32 v23, v10, v11 offset0:110 offset1:229
	s_wait_loadcnt 0xa
	ds_store_2addr_b32 v24, v12, v13 offset0:92 offset1:211
	s_wait_loadcnt 0x8
	ds_store_2addr_b32 v25, v14, v15 offset0:74 offset1:193
	s_wait_loadcnt 0x6
	ds_store_2addr_b32 v26, v16, v17 offset0:56 offset1:175
	s_wait_loadcnt 0x4
	ds_store_2addr_b32 v27, v18, v19 offset0:38 offset1:157
	s_wait_loadcnt 0x2
	ds_store_2addr_b32 v28, v20, v21 offset0:20 offset1:139
	s_wait_loadcnt 0x0
	ds_store_2addr_b32 v29, v22, v6 offset0:130 offset1:249
	v_cmpx_eq_u32_e32 0x76, v0
	s_cbranch_execz .LBB0_12
; %bb.11:
	global_load_b32 v4, v[4:5], off offset:7616
	v_mov_b32_e32 v0, 0x76
	s_wait_loadcnt 0x0
	ds_store_b32 v1, v4 offset:7616
.LBB0_12:
	s_wait_alu 0xfffe
	s_or_b32 exec_lo, exec_lo, s2
.LBB0_13:
	s_wait_alu 0xfffe
	s_or_b32 exec_lo, exec_lo, s1
	v_lshlrev_b32_e32 v1, 2, v0
	global_wb scope:SCOPE_SE
	s_wait_dscnt 0x0
	s_barrier_signal -1
	s_barrier_wait -1
	global_inv scope:SCOPE_SE
	v_add_nc_u32_e32 v20, 0, v1
	v_sub_nc_u32_e32 v6, 0, v1
	s_mov_b32 s1, exec_lo
                                        ; implicit-def: $vgpr4_vgpr5
	ds_load_u16 v9, v20
	ds_load_u16 v10, v6 offset:7616
	s_wait_dscnt 0x0
	v_add_f16_e32 v8, v10, v9
	v_sub_f16_e32 v7, v9, v10
	v_cmpx_ne_u32_e32 0, v0
	s_wait_alu 0xfffe
	s_xor_b32 s1, exec_lo, s1
	s_cbranch_execz .LBB0_15
; %bb.14:
	v_mov_b32_e32 v1, 0
	v_add_f16_e32 v8, v10, v9
	v_sub_f16_e32 v9, v9, v10
	s_delay_alu instid0(VALU_DEP_3) | instskip(NEXT) | instid1(VALU_DEP_1)
	v_lshlrev_b64_e32 v[4:5], 2, v[0:1]
	v_add_co_u32 v4, s0, s4, v4
	s_wait_alu 0xf1ff
	s_delay_alu instid0(VALU_DEP_2)
	v_add_co_ci_u32_e64 v5, s0, s5, v5, s0
	global_load_b32 v4, v[4:5], off offset:7548
	ds_load_u16 v5, v6 offset:7618
	ds_load_u16 v7, v20 offset:2
	s_wait_dscnt 0x0
	v_add_f16_e32 v10, v5, v7
	v_sub_f16_e32 v5, v7, v5
	s_wait_loadcnt 0x0
	v_lshrrev_b32_e32 v11, 16, v4
	s_delay_alu instid0(VALU_DEP_1) | instskip(NEXT) | instid1(VALU_DEP_3)
	v_fma_f16 v12, -v9, v11, v8
	v_fma_f16 v13, v10, v11, -v5
	v_fma_f16 v7, v10, v11, v5
	v_fma_f16 v8, v9, v11, v8
	s_delay_alu instid0(VALU_DEP_4) | instskip(NEXT) | instid1(VALU_DEP_4)
	v_fmac_f16_e32 v12, v4, v10
	v_fmac_f16_e32 v13, v9, v4
	s_delay_alu instid0(VALU_DEP_4) | instskip(NEXT) | instid1(VALU_DEP_4)
	v_fmac_f16_e32 v7, v9, v4
	v_fma_f16 v8, -v4, v10, v8
	v_dual_mov_b32 v5, v1 :: v_dual_mov_b32 v4, v0
	s_delay_alu instid0(VALU_DEP_4)
	v_pack_b32_f16 v9, v12, v13
	ds_store_b32 v6, v9 offset:7616
.LBB0_15:
	s_wait_alu 0xfffe
	s_and_not1_saveexec_b32 s0, s1
	s_cbranch_execz .LBB0_17
; %bb.16:
	v_mov_b32_e32 v1, 0
	ds_load_b32 v4, v1 offset:3808
	s_wait_dscnt 0x0
	v_pk_mul_f16 v9, 0xc0004000, v4
	v_mov_b32_e32 v4, 0
	v_mov_b32_e32 v5, 0
	ds_store_b32 v1, v9 offset:3808
.LBB0_17:
	s_wait_alu 0xfffe
	s_or_b32 exec_lo, exec_lo, s0
	v_lshlrev_b64_e32 v[4:5], 2, v[4:5]
	s_add_nc_u64 s[0:1], s[4:5], 0x1d7c
	v_perm_b32 v7, v7, v8, 0x5040100
	v_add_nc_u32_e32 v23, 0x1800, v20
	v_add_nc_u32_e32 v26, 0x200, v20
	;; [unrolled: 1-line block ×3, first 2 shown]
	s_wait_alu 0xfffe
	v_add_co_u32 v4, s0, s0, v4
	s_wait_alu 0xf1ff
	v_add_co_ci_u32_e64 v5, s0, s1, v5, s0
	v_add_nc_u32_e32 v27, 0x600, v20
	v_add_nc_u32_e32 v28, 0xa00, v20
	;; [unrolled: 1-line block ×3, first 2 shown]
	s_clause 0x6
	global_load_b32 v1, v[4:5], off offset:476
	global_load_b32 v9, v[4:5], off offset:952
	global_load_b32 v10, v[4:5], off offset:1428
	global_load_b32 v11, v[4:5], off offset:1904
	global_load_b32 v12, v[4:5], off offset:2380
	global_load_b32 v13, v[4:5], off offset:2856
	global_load_b32 v4, v[4:5], off offset:3332
	ds_store_b32 v20, v7
	ds_load_b32 v5, v20 offset:476
	ds_load_b32 v7, v6 offset:7140
	v_add_nc_u32_e32 v25, 0xc00, v20
	s_mov_b32 s1, exec_lo
	s_wait_dscnt 0x1
	v_lshrrev_b32_e32 v8, 16, v5
	s_wait_dscnt 0x0
	v_lshrrev_b32_e32 v14, 16, v7
	v_add_f16_e32 v15, v5, v7
	v_sub_f16_e32 v5, v5, v7
	s_delay_alu instid0(VALU_DEP_3) | instskip(SKIP_3) | instid1(VALU_DEP_1)
	v_add_f16_e32 v7, v14, v8
	v_sub_f16_e32 v8, v8, v14
	s_wait_loadcnt 0x6
	v_lshrrev_b32_e32 v16, 16, v1
	v_fma_f16 v14, v5, v16, v15
	s_delay_alu instid0(VALU_DEP_3) | instskip(SKIP_2) | instid1(VALU_DEP_4)
	v_fma_f16 v17, v7, v16, v8
	v_fma_f16 v15, -v5, v16, v15
	v_fma_f16 v8, v7, v16, -v8
	v_fma_f16 v14, -v1, v7, v14
	s_delay_alu instid0(VALU_DEP_4) | instskip(NEXT) | instid1(VALU_DEP_4)
	v_fmac_f16_e32 v17, v5, v1
	v_fmac_f16_e32 v15, v1, v7
	s_delay_alu instid0(VALU_DEP_4) | instskip(NEXT) | instid1(VALU_DEP_3)
	v_fmac_f16_e32 v8, v5, v1
	v_pack_b32_f16 v1, v14, v17
	s_wait_loadcnt 0x5
	v_lshrrev_b32_e32 v14, 16, v9
	s_delay_alu instid0(VALU_DEP_3)
	v_pack_b32_f16 v5, v15, v8
	ds_store_b32 v20, v1 offset:476
	ds_store_b32 v6, v5 offset:7140
	ds_load_b32 v1, v20 offset:952
	ds_load_b32 v5, v6 offset:6664
	s_wait_dscnt 0x1
	v_lshrrev_b32_e32 v7, 16, v1
	s_wait_dscnt 0x0
	v_lshrrev_b32_e32 v8, 16, v5
	v_add_f16_e32 v15, v1, v5
	v_sub_f16_e32 v1, v1, v5
	s_delay_alu instid0(VALU_DEP_3) | instskip(SKIP_1) | instid1(VALU_DEP_3)
	v_add_f16_e32 v5, v8, v7
	v_sub_f16_e32 v7, v7, v8
	v_fma_f16 v8, v1, v14, v15
	v_fma_f16 v15, -v1, v14, v15
	s_delay_alu instid0(VALU_DEP_3) | instskip(SKIP_1) | instid1(VALU_DEP_4)
	v_fma_f16 v16, v5, v14, v7
	v_fma_f16 v7, v5, v14, -v7
	v_fma_f16 v8, -v9, v5, v8
	s_delay_alu instid0(VALU_DEP_4) | instskip(NEXT) | instid1(VALU_DEP_4)
	v_fmac_f16_e32 v15, v9, v5
	v_fmac_f16_e32 v16, v1, v9
	s_delay_alu instid0(VALU_DEP_4) | instskip(SKIP_2) | instid1(VALU_DEP_3)
	v_fmac_f16_e32 v7, v1, v9
	s_wait_loadcnt 0x4
	v_lshrrev_b32_e32 v9, 16, v10
	v_pack_b32_f16 v1, v8, v16
	s_delay_alu instid0(VALU_DEP_3)
	v_pack_b32_f16 v5, v15, v7
	ds_store_b32 v20, v1 offset:952
	ds_store_b32 v6, v5 offset:6664
	ds_load_b32 v1, v20 offset:1428
	ds_load_b32 v5, v6 offset:6188
	s_wait_dscnt 0x1
	v_lshrrev_b32_e32 v7, 16, v1
	s_wait_dscnt 0x0
	v_lshrrev_b32_e32 v8, 16, v5
	v_add_f16_e32 v14, v1, v5
	v_sub_f16_e32 v1, v1, v5
	s_delay_alu instid0(VALU_DEP_3) | instskip(SKIP_1) | instid1(VALU_DEP_3)
	v_add_f16_e32 v5, v8, v7
	v_sub_f16_e32 v7, v7, v8
	v_fma_f16 v8, v1, v9, v14
	v_fma_f16 v14, -v1, v9, v14
	s_delay_alu instid0(VALU_DEP_3) | instskip(SKIP_1) | instid1(VALU_DEP_4)
	v_fma_f16 v15, v5, v9, v7
	v_fma_f16 v7, v5, v9, -v7
	v_fma_f16 v8, -v10, v5, v8
	s_delay_alu instid0(VALU_DEP_4) | instskip(SKIP_4) | instid1(VALU_DEP_2)
	v_fmac_f16_e32 v14, v10, v5
	s_wait_loadcnt 0x3
	v_lshrrev_b32_e32 v9, 16, v11
	v_fmac_f16_e32 v15, v1, v10
	v_fmac_f16_e32 v7, v1, v10
	v_pack_b32_f16 v1, v8, v15
	s_delay_alu instid0(VALU_DEP_2)
	v_pack_b32_f16 v5, v14, v7
	ds_store_b32 v20, v1 offset:1428
	ds_store_b32 v6, v5 offset:6188
	ds_load_b32 v1, v20 offset:1904
	ds_load_b32 v5, v6 offset:5712
	s_wait_dscnt 0x1
	v_lshrrev_b32_e32 v7, 16, v1
	s_wait_dscnt 0x0
	v_lshrrev_b32_e32 v8, 16, v5
	v_add_f16_e32 v10, v1, v5
	v_sub_f16_e32 v1, v1, v5
	s_delay_alu instid0(VALU_DEP_3) | instskip(SKIP_1) | instid1(VALU_DEP_3)
	v_add_f16_e32 v5, v8, v7
	v_sub_f16_e32 v7, v7, v8
	v_fma_f16 v8, v1, v9, v10
	v_fma_f16 v10, -v1, v9, v10
	s_delay_alu instid0(VALU_DEP_3) | instskip(SKIP_1) | instid1(VALU_DEP_4)
	v_fma_f16 v14, v5, v9, v7
	v_fma_f16 v7, v5, v9, -v7
	v_fma_f16 v8, -v11, v5, v8
	s_delay_alu instid0(VALU_DEP_4) | instskip(SKIP_4) | instid1(VALU_DEP_2)
	v_fmac_f16_e32 v10, v11, v5
	s_wait_loadcnt 0x2
	v_lshrrev_b32_e32 v9, 16, v12
	v_fmac_f16_e32 v14, v1, v11
	v_fmac_f16_e32 v7, v1, v11
	v_pack_b32_f16 v1, v8, v14
	s_delay_alu instid0(VALU_DEP_2)
	;; [unrolled: 28-line block ×4, first 2 shown]
	v_pack_b32_f16 v5, v10, v7
	ds_store_b32 v20, v1 offset:2856
	ds_store_b32 v6, v5 offset:4760
	ds_load_b32 v1, v20 offset:3332
	ds_load_b32 v5, v6 offset:4284
	s_wait_dscnt 0x1
	v_lshrrev_b32_e32 v7, 16, v1
	s_wait_dscnt 0x0
	v_lshrrev_b32_e32 v8, 16, v5
	v_add_f16_e32 v10, v1, v5
	v_sub_f16_e32 v1, v1, v5
	s_delay_alu instid0(VALU_DEP_3) | instskip(SKIP_1) | instid1(VALU_DEP_3)
	v_add_f16_e32 v5, v8, v7
	v_sub_f16_e32 v7, v7, v8
	v_fma_f16 v8, v1, v9, v10
	v_fma_f16 v10, -v1, v9, v10
	s_delay_alu instid0(VALU_DEP_3) | instskip(SKIP_1) | instid1(VALU_DEP_4)
	v_fma_f16 v11, v5, v9, v7
	v_fma_f16 v7, v5, v9, -v7
	v_fma_f16 v8, -v4, v5, v8
	s_delay_alu instid0(VALU_DEP_4) | instskip(NEXT) | instid1(VALU_DEP_4)
	v_fmac_f16_e32 v10, v4, v5
	v_fmac_f16_e32 v11, v1, v4
	s_delay_alu instid0(VALU_DEP_4) | instskip(NEXT) | instid1(VALU_DEP_2)
	v_fmac_f16_e32 v7, v1, v4
	v_pack_b32_f16 v1, v8, v11
	s_delay_alu instid0(VALU_DEP_2)
	v_pack_b32_f16 v4, v10, v7
	ds_store_b32 v20, v1 offset:3332
	ds_store_b32 v6, v4 offset:4284
	global_wb scope:SCOPE_SE
	s_wait_dscnt 0x0
	s_barrier_signal -1
	s_barrier_wait -1
	global_inv scope:SCOPE_SE
	global_wb scope:SCOPE_SE
	s_barrier_signal -1
	s_barrier_wait -1
	global_inv scope:SCOPE_SE
	ds_load_2addr_b32 v[4:5], v20 offset1:112
	ds_load_b32 v42, v20 offset:7168
	ds_load_2addr_b32 v[6:7], v23 offset0:32 offset1:144
	ds_load_2addr_b32 v[18:19], v26 offset0:96 offset1:208
	;; [unrolled: 1-line block ×7, first 2 shown]
	global_wb scope:SCOPE_SE
	s_wait_dscnt 0x0
	s_barrier_signal -1
	s_barrier_wait -1
	global_inv scope:SCOPE_SE
	v_lshrrev_b32_e32 v46, 16, v4
	v_pk_add_f16 v29, v5, v42 neg_lo:[0,1] neg_hi:[0,1]
	v_pk_add_f16 v40, v42, v5
	v_pk_add_f16 v30, v18, v7 neg_lo:[0,1] neg_hi:[0,1]
	v_pk_add_f16 v43, v7, v18
	v_pk_add_f16 v31, v19, v6 neg_lo:[0,1] neg_hi:[0,1]
	v_lshrrev_b32_e32 v93, 16, v29
	v_lshrrev_b32_e32 v70, 16, v40
	v_mul_f16_e32 v63, 0xb5c8, v29
	v_lshrrev_b32_e32 v92, 16, v30
	v_pk_add_f16 v34, v6, v19
	v_mul_f16_e32 v58, 0xb5c8, v93
	v_pk_add_f16 v32, v16, v9 neg_lo:[0,1] neg_hi:[0,1]
	v_lshrrev_b32_e32 v69, 16, v43
	v_mul_f16_e32 v62, 0xb964, v30
	v_lshrrev_b32_e32 v91, 16, v31
	v_fma_f16 v1, v70, 0x3b76, -v63
	v_mul_f16_e32 v59, 0xb964, v92
	v_fmamk_f16 v21, v40, 0x3b76, v58
	v_pk_add_f16 v36, v9, v16
	v_pk_add_f16 v35, v17, v8 neg_lo:[0,1] neg_hi:[0,1]
	v_lshrrev_b32_e32 v68, 16, v34
	v_mul_f16_e32 v61, 0xbb29, v31
	v_lshrrev_b32_e32 v90, 16, v32
	v_fma_f16 v50, v69, 0x39e9, -v62
	v_mul_f16_e32 v55, 0xbb29, v91
	v_add_f16_e32 v1, v46, v1
	v_fmamk_f16 v51, v43, 0x39e9, v59
	v_add_f16_e32 v21, v4, v21
	v_pk_add_f16 v38, v8, v17
	v_pk_add_f16 v37, v14, v11 neg_lo:[0,1] neg_hi:[0,1]
	v_lshrrev_b32_e32 v67, 16, v36
	v_mul_f16_e32 v60, 0xbbf7, v32
	v_lshrrev_b32_e32 v89, 16, v35
	v_fma_f16 v52, v68, 0x3722, -v61
	v_mul_f16_e32 v54, 0xbbf7, v90
	v_fmamk_f16 v71, v34, 0x3722, v55
	v_add_f16_e32 v1, v50, v1
	v_add_f16_e32 v21, v51, v21
	v_pk_add_f16 v41, v11, v14
	v_pk_add_f16 v39, v15, v10 neg_lo:[0,1] neg_hi:[0,1]
	v_lshrrev_b32_e32 v66, 16, v38
	v_mul_f16_e32 v57, 0xbbb2, v35
	v_lshrrev_b32_e32 v88, 16, v37
	v_fma_f16 v50, v67, 0x2de8, -v60
	v_mul_f16_e32 v53, 0xbbb2, v89
	v_fmamk_f16 v51, v36, 0x2de8, v54
	v_add_f16_e32 v1, v52, v1
	;; [unrolled: 10-line block ×3, first 2 shown]
	v_add_f16_e32 v21, v51, v21
	v_pk_add_f16 v45, v13, v12
	v_lshrrev_b32_e32 v64, 16, v44
	v_mul_f16_e32 v48, 0xb836, v39
	v_lshrrev_b32_e32 v86, 16, v33
	v_fma_f16 v73, v65, 0xb8d2, -v49
	v_mul_f16_e32 v51, 0xb836, v87
	v_fmamk_f16 v74, v41, 0xb8d2, v52
	v_add_f16_e32 v1, v71, v1
	v_add_f16_e32 v21, v72, v21
	v_lshrrev_b32_e32 v56, 16, v45
	v_mul_f16_e32 v47, 0xb1e1, v33
	v_fma_f16 v71, v64, 0xbacd, -v48
	v_mul_f16_e32 v50, 0xb1e1, v86
	v_fmamk_f16 v72, v44, 0xbacd, v51
	v_add_f16_e32 v1, v73, v1
	v_add_f16_e32 v21, v74, v21
	v_fma_f16 v73, v56, 0xbbdd, -v47
	v_fmamk_f16 v74, v45, 0xbbdd, v50
	s_delay_alu instid0(VALU_DEP_4) | instskip(NEXT) | instid1(VALU_DEP_4)
	v_add_f16_e32 v1, v71, v1
	v_add_f16_e32 v71, v72, v21
	s_delay_alu instid0(VALU_DEP_2) | instskip(NEXT) | instid1(VALU_DEP_2)
	v_add_f16_e32 v21, v73, v1
	v_add_f16_e32 v1, v74, v71
	v_cmpx_gt_u32_e32 0x70, v0
	s_cbranch_execz .LBB0_19
; %bb.18:
	v_mul_f16_e32 v78, 0xb964, v93
	v_mul_f16_e32 v77, 0xbbf7, v92
	;; [unrolled: 1-line block ×5, first 2 shown]
	v_fmamk_f16 v71, v40, 0x39e9, v78
	v_fmamk_f16 v79, v43, 0x2de8, v77
	v_fmamk_f16 v83, v29, 0x3b29, v84
	v_mul_f16_e32 v75, 0xb1e1, v90
	v_fmamk_f16 v85, v34, 0xb8d2, v76
	v_add_f16_e32 v80, v4, v71
	v_mul_f16_e32 v82, 0xbbdd, v68
	v_add_f16_e32 v83, v46, v83
	v_mul_f16_e32 v74, 0x3836, v89
	v_fmamk_f16 v94, v36, 0xbbdd, v75
	v_add_f16_e32 v79, v79, v80
	v_fmamk_f16 v80, v30, 0x3a62, v81
	v_fmamk_f16 v95, v31, 0xb1e1, v82
	v_mul_f16_e32 v73, 0x3bb2, v88
	v_fmamk_f16 v96, v38, 0xbacd, v74
	v_add_f16_e32 v79, v85, v79
	v_mul_f16_e32 v85, 0xb461, v67
	v_add_f16_e32 v80, v80, v83
	v_mul_f16_e32 v83, 0x39e9, v66
	v_mul_f16_e32 v72, 0x3b29, v87
	v_add_f16_e32 v79, v94, v79
	v_fmamk_f16 v94, v32, 0xbbb2, v85
	v_add_f16_e32 v80, v95, v80
	v_fmamk_f16 v95, v41, 0xb461, v73
	v_fmamk_f16 v97, v35, 0xb964, v83
	v_add_f16_e32 v96, v96, v79
	v_mul_f16_e32 v79, 0x3b76, v65
	v_add_f16_e32 v94, v94, v80
	v_mul_f16_e32 v71, 0x35c8, v86
	v_fmamk_f16 v98, v44, 0x3722, v72
	v_add_f16_e32 v95, v95, v96
	v_fmamk_f16 v96, v37, 0x35c8, v79
	v_add_f16_e32 v97, v97, v94
	v_mul_f16_e32 v100, 0x2de8, v70
	v_mul_f16_e32 v80, 0x2de8, v64
	v_fmamk_f16 v99, v45, 0x3b76, v71
	v_add_f16_e32 v95, v98, v95
	v_pk_add_f16 v98, v4, v5
	v_add_f16_e32 v96, v96, v97
	v_fmamk_f16 v97, v29, 0x3bf7, v100
	v_mul_f16_e32 v101, 0xbbdd, v69
	v_mul_f16_e32 v94, 0xbacd, v56
	v_fmamk_f16 v102, v39, 0x3bf7, v80
	v_add_f16_e32 v5, v99, v95
	v_pk_add_f16 v18, v98, v18
	v_add_f16_e32 v95, v46, v97
	v_fmamk_f16 v97, v30, 0x31e1, v101
	v_mul_f16_e32 v98, 0xb461, v68
	v_add_f16_e32 v96, v102, v96
	v_fmamk_f16 v99, v33, 0x3836, v94
	v_pk_add_f16 v19, v18, v19
	v_add_f16_e32 v95, v97, v95
	v_fmamk_f16 v97, v31, 0xbbb2, v98
	v_mul_f16_e32 v102, 0x3b76, v67
	v_add_f16_e32 v18, v99, v96
	v_pk_add_f16 v16, v19, v16
	v_mul_f16_e32 v19, 0xbbf7, v93
	v_add_f16_e32 v95, v97, v95
	v_fmamk_f16 v96, v32, 0xb5c8, v102
	v_mul_f16_e32 v97, 0x3722, v66
	v_pk_add_f16 v16, v16, v17
	v_fmamk_f16 v17, v40, 0x2de8, v19
	v_mul_f16_e32 v99, 0xb1e1, v92
	v_add_f16_e32 v95, v96, v95
	v_fmamk_f16 v96, v35, 0x3b29, v97
	v_mul_f16_e32 v103, 0xbacd, v65
	v_add_f16_e32 v17, v4, v17
	v_fmamk_f16 v104, v43, 0xbbdd, v99
	v_mul_f16_e32 v105, 0x3bb2, v91
	v_pk_add_f16 v14, v16, v14
	v_add_f16_e32 v16, v96, v95
	v_fmamk_f16 v95, v37, 0x3836, v103
	v_add_f16_e32 v17, v104, v17
	v_fmamk_f16 v96, v34, 0xb461, v105
	v_mul_f16_e32 v104, 0x35c8, v90
	v_pk_add_f16 v15, v14, v15
	v_add_f16_e32 v14, v95, v16
	v_mul_f16_e32 v95, 0xb461, v70
	v_add_f16_e32 v16, v96, v17
	v_fmamk_f16 v17, v36, 0x3b76, v104
	v_mul_f16_e32 v96, 0xbb29, v89
	v_pk_add_f16 v12, v15, v12
	v_fmamk_f16 v15, v29, 0x3bb2, v95
	v_mul_f16_e32 v106, 0xbacd, v69
	v_add_f16_e32 v16, v17, v16
	v_fmamk_f16 v17, v38, 0x3722, v96
	v_mul_f16_e32 v107, 0xb836, v88
	v_add_f16_e32 v15, v46, v15
	v_fmamk_f16 v108, v30, 0xb836, v106
	v_mul_f16_e32 v109, 0x39e9, v68
	v_add_f16_e32 v16, v17, v16
	v_fmamk_f16 v17, v41, 0xbacd, v107
	v_mul_f16_e32 v111, 0x3722, v67
	v_add_f16_e32 v15, v108, v15
	v_fmamk_f16 v108, v31, 0xb964, v109
	v_mul_f16_e32 v110, 0x3a62, v87
	v_add_f16_e32 v17, v17, v16
	v_pk_add_f16 v16, v12, v13
	v_fmamk_f16 v13, v32, 0x3b29, v111
	v_add_f16_e32 v12, v108, v15
	v_mul_f16_e32 v108, 0xbbdd, v66
	v_fmamk_f16 v112, v44, 0xb8d2, v110
	v_mul_f16_e32 v113, 0xbbb2, v93
	v_mul_f16_e32 v114, 0x2de8, v65
	v_add_f16_e32 v12, v13, v12
	v_fmamk_f16 v13, v35, 0x31e1, v108
	v_add_f16_e32 v15, v112, v17
	v_mul_f16_e32 v112, 0x3964, v86
	v_fmamk_f16 v115, v40, 0xb461, v113
	v_mul_f16_e32 v116, 0x3836, v92
	v_add_f16_e32 v12, v13, v12
	v_fmamk_f16 v13, v37, 0xbbf7, v114
	v_mul_f16_e32 v117, 0x3b76, v64
	v_fmamk_f16 v17, v45, 0x39e9, v112
	v_add_f16_e32 v115, v4, v115
	v_fmamk_f16 v118, v43, 0xbacd, v116
	v_mul_f16_e32 v119, 0x3964, v91
	v_add_f16_e32 v13, v13, v12
	v_fmamk_f16 v120, v39, 0x35c8, v117
	v_add_f16_e32 v12, v17, v15
	v_add_f16_e32 v15, v118, v115
	v_fmamk_f16 v17, v34, 0x39e9, v119
	v_mul_f16_e32 v115, 0xbb29, v90
	v_add_f16_e32 v13, v120, v13
	v_mul_f16_e32 v120, 0xb8d2, v70
	v_mul_f16_e32 v121, 0xb1e1, v89
	v_add_f16_e32 v15, v17, v15
	v_fmamk_f16 v17, v36, 0x3722, v115
	v_mul_f16_e32 v124, 0xb461, v69
	v_fmamk_f16 v123, v29, 0x3a62, v120
	v_mul_f16_e32 v118, 0xb8d2, v56
	v_mul_f16_e32 v125, 0x3bf7, v88
	v_add_f16_e32 v15, v17, v15
	v_fmamk_f16 v17, v38, 0xbbdd, v121
	v_add_f16_e32 v123, v46, v123
	v_fmamk_f16 v126, v30, 0xbbb2, v124
	v_mul_f16_e32 v127, 0x3b76, v68
	v_fmamk_f16 v122, v33, 0x3a62, v118
	v_add_f16_e32 v15, v17, v15
	v_fmamk_f16 v17, v41, 0x2de8, v125
	v_mul_f16_e64 v128, 0xb5c8, v87
	v_add_f16_e32 v123, v126, v123
	v_fmamk_f16 v126, v31, 0x35c8, v127
	v_mul_f16_e64 v129, 0xbacd, v67
	v_add_f16_e32 v15, v17, v15
	v_fma_f16 v17, 0x3b76, v44, v128
	v_add_f16_e32 v13, v122, v13
	v_add_f16_e32 v122, v126, v123
	v_fma_f16 v123, 0x3836, v32, v129
	v_mul_f16_e32 v126, 0x2de8, v66
	v_mul_f16_e64 v131, 0xba62, v93
	v_add_f16_e32 v15, v17, v15
	v_mul_f16_e64 v134, 0x3bb2, v92
	v_add_f16_e32 v17, v123, v122
	v_fmamk_f16 v122, v35, 0xbbf7, v126
	v_mul_f16_e32 v123, 0x39e9, v65
	v_fma_f16 v133, 0xb8d2, v40, v131
	v_mul_f16_e64 v130, 0xba62, v86
	v_mul_f16_e64 v135, 0xbbdd, v64
	v_add_f16_e32 v17, v122, v17
	v_fmamk_f16 v122, v37, 0x3964, v123
	v_add_f16_e64 v133, v4, v133
	v_fma_f16 v136, 0xb461, v43, v134
	v_fma_f16 v132, 0xb8d2, v45, v130
	v_mul_f16_e64 v137, 0xb5c8, v91
	v_add_f16_e32 v17, v122, v17
	v_fma_f16 v122, 0x31e1, v39, v135
	v_add_f16_e64 v133, v136, v133
	v_mul_f16_e64 v136, 0xbacd, v70
	v_fma_f16 v139, 0x3b76, v34, v137
	v_mul_f16_e64 v140, 0xb836, v90
	v_add_f16_e64 v15, v132, v15
	v_add_f16_e32 v17, v122, v17
	v_fma_f16 v122, 0x3836, v29, v136
	v_mul_f16_e64 v132, 0x3722, v69
	v_add_f16_e64 v133, v139, v133
	v_fma_f16 v139, 0xbacd, v36, v140
	v_mul_f16_e64 v141, 0x3bf7, v89
	v_add_f16_e32 v122, v46, v122
	v_fma_f16 v142, 0xbb29, v30, v132
	v_mul_f16_e64 v143, 0x2de8, v68
	v_add_f16_e64 v133, v139, v133
	v_fma_f16 v139, 0x2de8, v38, v141
	v_mul_f16_e64 v144, 0xb964, v88
	v_add_f16_e64 v122, v142, v122
	v_fma_f16 v142, 0x3bf7, v31, v143
	v_mul_f16_e64 v145, 0xb8d2, v67
	v_mul_f16_e64 v138, 0x3722, v56
	v_add_f16_e64 v133, v139, v133
	v_fma_f16 v139, 0x39e9, v41, v144
	v_mul_f16_e64 v146, 0xb1e1, v87
	v_add_f16_e64 v122, v142, v122
	v_fma_f16 v142, 0xba62, v32, v145
	v_mul_f16_e64 v147, 0x3b76, v66
	v_fma_f16 v148, 0xbb29, v33, v138
	v_add_f16_e64 v133, v139, v133
	v_fma_f16 v139, 0xbbdd, v44, v146
	v_add_f16_e64 v122, v142, v122
	v_fma_f16 v142, 0x35c8, v35, v147
	v_mul_f16_e64 v149, 0xbbdd, v65
	v_mul_f16_e32 v93, 0xb836, v93
	v_add_f16_e64 v17, v148, v17
	v_add_f16_e64 v133, v139, v133
	;; [unrolled: 1-line block ×3, first 2 shown]
	v_fma_f16 v139, 0x31e1, v37, v149
	v_mul_f16_e64 v142, 0x39e9, v64
	v_fma_f16 v148, 0xbacd, v40, v93
	v_mul_f16_e32 v92, 0x3b29, v92
	v_mul_f16_e32 v91, 0xbbf7, v91
	v_add_f16_e64 v122, v139, v122
	v_fma_f16 v139, 0xb964, v39, v142
	v_add_f16_e64 v148, v4, v148
	v_fma_f16 v151, 0x3722, v43, v92
	v_mul_f16_e32 v90, 0x3a62, v90
	v_fma_f16 v93, v40, 0xbacd, -v93
	v_add_f16_e64 v122, v139, v122
	v_fmac_f16_e64 v136, 0xb836, v29
	v_add_f16_e64 v139, v151, v148
	v_fma_f16 v148, 0x2de8, v34, v91
	v_mul_f16_e32 v89, 0xb5c8, v89
	v_add_f16_e32 v93, v4, v93
	v_fma_f16 v92, v43, 0x3722, -v92
	v_add_f16_e64 v136, v46, v136
	v_add_f16_e64 v139, v148, v139
	v_fma_f16 v148, 0xb8d2, v36, v90
	v_fmac_f16_e64 v132, 0x3b29, v30
	v_mul_f16_e32 v88, 0xb1e1, v88
	v_add_f16_e32 v92, v92, v93
	v_fma_f16 v91, v34, 0x2de8, -v91
	v_add_f16_e64 v139, v148, v139
	v_fma_f16 v148, 0x3b76, v38, v89
	v_add_f16_e64 v132, v132, v136
	v_mul_f16_e32 v87, 0x3964, v87
	v_add_f16_e32 v91, v91, v92
	v_fma_f16 v90, v36, 0xb8d2, -v90
	v_add_f16_e64 v136, v148, v139
	v_fma_f16 v139, 0xbbdd, v41, v88
	v_mul_f16_e64 v150, 0x3b29, v86
	v_fmamk_f16 v92, v44, 0x39e9, v87
	v_mul_f16_e32 v86, 0xbbb2, v86
	v_add_f16_e32 v90, v90, v91
	v_add_f16_e64 v93, v139, v136
	v_fma_f16 v89, v38, 0x3b76, -v89
	v_fma_f16 v88, v41, 0xbbdd, -v88
	v_fmac_f16_e32 v120, 0xba62, v29
	v_fma_f16 v87, v44, 0x39e9, -v87
	v_add_f16_e32 v91, v92, v93
	v_fmamk_f16 v92, v45, 0xb461, v86
	v_add_f16_e32 v89, v89, v90
	v_fmac_f16_e32 v124, 0x3bb2, v30
	v_fmac_f16_e64 v143, 0xbbf7, v31
	v_fma_f16 v86, v45, 0xb461, -v86
	v_add_f16_e32 v90, v92, v91
	v_add_f16_e32 v88, v88, v89
	;; [unrolled: 1-line block ×3, first 2 shown]
	v_fma_f16 v92, v40, 0xb8d2, -v131
	v_fmac_f16_e32 v127, 0xb5c8, v31
	v_fmac_f16_e32 v95, 0xbbb2, v29
	v_add_f16_e32 v87, v87, v88
	v_add_f16_e32 v88, v124, v89
	;; [unrolled: 1-line block ×3, first 2 shown]
	v_fma_f16 v92, v43, 0xb461, -v134
	v_fmac_f16_e32 v84, 0xbb29, v29
	v_add_f16_e64 v132, v143, v132
	v_fmac_f16_e64 v145, 0x3a62, v32
	v_add_f16_e32 v86, v86, v87
	v_add_f16_e32 v87, v127, v88
	v_add_f16_e32 v88, v92, v89
	v_fma_f16 v89, v34, 0x3b76, -v137
	v_add_f16_e32 v92, v46, v95
	v_fmac_f16_e32 v106, 0x3836, v30
	v_add_f16_e32 v84, v46, v84
	v_fmac_f16_e32 v81, 0xba62, v30
	v_add_f16_e64 v132, v145, v132
	v_fmac_f16_e64 v147, 0xb5c8, v35
	v_add_f16_e32 v88, v89, v88
	v_fma_f16 v89, v36, 0xbacd, -v140
	v_add_f16_e32 v92, v106, v92
	v_fmac_f16_e32 v109, 0x3964, v31
	v_add_f16_e32 v81, v81, v84
	v_fmac_f16_e32 v82, 0x31e1, v31
	v_add_f16_e64 v132, v147, v132
	v_fmac_f16_e64 v149, 0xb1e1, v37
	v_add_f16_e32 v88, v89, v88
	v_fma_f16 v89, v38, 0x2de8, -v141
	v_add_f16_e32 v92, v109, v92
	v_fmac_f16_e32 v111, 0xbb29, v32
	v_fma_f16 v78, v40, 0x39e9, -v78
	v_add_f16_e32 v81, v82, v81
	v_fmac_f16_e32 v85, 0x3bb2, v32
	v_add_f16_e64 v93, v149, v132
	v_fmac_f16_e64 v142, 0x3964, v39
	v_add_f16_e32 v88, v89, v88
	v_fma_f16 v89, v41, 0x39e9, -v144
	v_add_f16_e32 v92, v111, v92
	v_fmac_f16_e32 v108, 0xb1e1, v35
	v_add_f16_e32 v78, v4, v78
	v_fma_f16 v77, v43, 0x2de8, -v77
	v_add_f16_e32 v81, v85, v81
	v_fmac_f16_e32 v83, 0x3964, v35
	v_add_f16_e64 v91, v142, v93
	v_add_f16_e32 v88, v89, v88
	v_fma_f16 v89, v44, 0xbbdd, -v146
	v_add_f16_e32 v92, v108, v92
	v_fmac_f16_e32 v114, 0x3bf7, v37
	v_fma_f16 v93, v40, 0xb461, -v113
	v_add_f16_e32 v77, v77, v78
	v_fma_f16 v76, v34, 0xb8d2, -v76
	v_add_f16_e32 v81, v83, v81
	v_fmac_f16_e32 v79, 0xb5c8, v37
	v_add_f16_e32 v88, v89, v88
	v_fma_f16 v89, v45, 0x3722, -v150
	v_add_f16_e32 v92, v114, v92
	v_fmac_f16_e32 v117, 0xb5c8, v39
	v_add_f16_e32 v93, v4, v93
	v_fma_f16 v95, v43, 0xbacd, -v116
	v_mul_f16_e32 v84, 0x3b76, v40
	v_mul_f16_e32 v70, 0x3b76, v70
	v_add_f16_e32 v76, v76, v77
	v_fma_f16 v75, v36, 0xbbdd, -v75
	v_add_f16_e32 v79, v79, v81
	v_fmac_f16_e32 v80, 0xbbf7, v39
	v_add_f16_e32 v88, v89, v88
	v_add_f16_e32 v89, v117, v92
	;; [unrolled: 1-line block ×3, first 2 shown]
	v_fma_f16 v93, v34, 0x39e9, -v119
	v_mul_f16_e32 v82, 0x39e9, v43
	v_mul_f16_e32 v69, 0x39e9, v69
	v_add_f16_e32 v75, v75, v76
	v_fma_f16 v74, v38, 0xbacd, -v74
	v_add_f16_e32 v79, v80, v79
	v_fmac_f16_e32 v94, 0xb836, v33
	v_pk_mul_f16 v80, 0x39e93722, v40
	v_add_f16_e32 v63, v63, v70
	v_sub_f16_e32 v58, v84, v58
	v_add_f16_e32 v92, v93, v92
	v_fma_f16 v93, v36, 0x3722, -v115
	v_mul_f16_e32 v85, 0x3722, v34
	v_mul_f16_e32 v68, 0x3722, v68
	v_add_f16_e32 v74, v74, v75
	v_pk_mul_f16 v75, 0x2de8b8d2, v43
	v_fma_f16 v73, v41, 0xb461, -v73
	v_add_f16_e32 v79, v94, v79
	v_pk_fma_f16 v94, 0xbb29b964, v29, v80 op_sel:[0,0,1] op_sel_hi:[1,1,0] neg_lo:[0,1,0] neg_hi:[0,1,0]
	v_add_f16_e32 v63, v46, v63
	v_add_f16_e32 v62, v62, v69
	v_pk_fma_f16 v80, 0xbb29b964, v29, v80 op_sel:[0,0,1] op_sel_hi:[1,1,0]
	v_sub_f16_e32 v59, v82, v59
	v_add_f16_e32 v58, v4, v58
	v_add_f16_e32 v92, v93, v92
	v_fma_f16 v93, v38, 0xbbdd, -v121
	v_mul_f16_e32 v78, 0x2de8, v36
	v_mul_f16_e32 v67, 0x2de8, v67
	v_pk_fma_f16 v70, 0xba62bbf7, v30, v75 op_sel:[0,0,1] op_sel_hi:[1,1,0] neg_lo:[0,1,0] neg_hi:[0,1,0]
	v_add_f16_e32 v73, v73, v74
	v_pk_mul_f16 v74, 0xb8d2bbdd, v34
	v_fma_f16 v72, v44, 0x3722, -v72
	v_add_f16_e32 v62, v62, v63
	v_add_f16_e32 v61, v61, v68
	v_pk_fma_f16 v75, 0xba62bbf7, v30, v75 op_sel:[0,0,1] op_sel_hi:[1,1,0]
	v_add_f16_e32 v58, v59, v58
	v_sub_f16_e32 v55, v85, v55
	v_pk_add_f16 v10, v16, v10
	v_bfi_b32 v16, 0xffff, v80, v94
	v_add_f16_e32 v92, v93, v92
	v_fma_f16 v93, v41, 0x2de8, -v125
	v_mul_f16_e32 v83, 0xb461, v38
	v_mul_f16_e32 v66, 0xb461, v66
	v_pk_mul_f16 v69, 0xbbddb461, v36
	v_add_f16_e32 v72, v72, v73
	v_pk_fma_f16 v73, 0x31e1ba62, v31, v74 op_sel:[0,0,1] op_sel_hi:[1,1,0] neg_lo:[0,1,0] neg_hi:[0,1,0]
	v_add_f16_e32 v61, v61, v62
	v_add_f16_e32 v60, v60, v67
	v_pk_fma_f16 v74, 0x31e1ba62, v31, v74 op_sel:[0,0,1] op_sel_hi:[1,1,0]
	v_add_f16_e32 v55, v55, v58
	v_sub_f16_e32 v54, v78, v54
	v_pk_add_f16 v10, v10, v11
	v_pk_add_f16 v11, v4, v16 op_sel:[1,0] op_sel_hi:[0,1]
	v_bfi_b32 v16, 0xffff, v75, v70
	v_fma_f16 v19, v40, 0x2de8, -v19
	v_add_f16_e32 v92, v93, v92
	v_fma_f16 v93, v44, 0x3b76, -v128
	v_mul_f16_e32 v77, 0xb8d2, v41
	v_mul_f16_e32 v65, 0xb8d2, v65
	v_pk_fma_f16 v63, 0x3bb2b1e1, v32, v69 op_sel:[0,0,1] op_sel_hi:[1,1,0] neg_lo:[0,1,0] neg_hi:[0,1,0]
	v_pk_mul_f16 v68, 0xbacd39e9, v38
	v_add_f16_e32 v60, v60, v61
	v_add_f16_e32 v57, v57, v66
	v_pk_fma_f16 v69, 0x3bb2b1e1, v32, v69 op_sel:[0,0,1] op_sel_hi:[1,1,0]
	v_add_f16_e32 v54, v54, v55
	v_sub_f16_e32 v53, v83, v53
	v_pk_add_f16 v8, v10, v8
	v_pk_add_f16 v10, v16, v11
	v_bfi_b32 v11, 0xffff, v74, v73
	v_add_f16_e32 v19, v4, v19
	v_fma_f16 v99, v43, 0xbbdd, -v99
	v_add_f16_e32 v92, v93, v92
	v_mul_f16_e32 v93, 0xb8d2, v64
	v_mul_f16_e32 v81, 0xbacd, v44
	;; [unrolled: 1-line block ×3, first 2 shown]
	v_pk_fma_f16 v62, 0x39643836, v35, v68 op_sel:[0,0,1] op_sel_hi:[1,1,0] neg_lo:[0,1,0] neg_hi:[0,1,0]
	v_pk_mul_f16 v67, 0xb4613b76, v41
	v_add_f16_e32 v57, v57, v60
	v_pk_fma_f16 v68, 0x39643836, v35, v68 op_sel:[0,0,1] op_sel_hi:[1,1,0]
	v_add_f16_e32 v49, v49, v65
	v_add_f16_e32 v16, v53, v54
	v_sub_f16_e32 v52, v77, v52
	v_pk_add_f16 v8, v8, v9
	v_pk_add_f16 v9, v11, v10
	v_bfi_b32 v10, 0xffff, v69, v63
	v_mul_f16_e64 v153, 0xb461, v56
	v_add_f16_e32 v19, v99, v19
	v_mul_f16_e32 v99, 0x39e9, v56
	v_mul_f16_e32 v76, 0xbbdd, v45
	v_pk_fma_f16 v61, 0xb5c83bb2, v37, v67 op_sel:[0,0,1] op_sel_hi:[1,1,0] neg_lo:[0,1,0] neg_hi:[0,1,0]
	v_pk_mul_f16 v66, 0x37222de8, v44
	v_pk_fma_f16 v67, 0xb5c83bb2, v37, v67 op_sel:[0,0,1] op_sel_hi:[1,1,0]
	v_mul_f16_e32 v56, 0xbbdd, v56
	v_add_f16_e32 v49, v49, v57
	v_add_f16_e32 v48, v48, v64
	;; [unrolled: 1-line block ×3, first 2 shown]
	v_sub_f16_e32 v16, v81, v51
	v_pk_add_f16 v6, v8, v6
	v_pk_add_f16 v8, v10, v9
	v_bfi_b32 v9, 0xffff, v68, v62
	v_fmac_f16_e32 v100, 0xbbf7, v29
	v_pk_fma_f16 v60, 0xbbf73b29, v39, v66 op_sel:[0,0,1] op_sel_hi:[1,1,0] neg_lo:[0,1,0] neg_hi:[0,1,0]
	v_pk_fma_f16 v66, 0xbbf73b29, v39, v66 op_sel:[0,0,1] op_sel_hi:[1,1,0]
	v_add_f16_e32 v48, v48, v49
	v_add_f16_e32 v47, v47, v56
	;; [unrolled: 1-line block ×3, first 2 shown]
	v_sub_f16_e32 v11, v76, v50
	v_pk_add_f16 v6, v6, v7
	v_pk_add_f16 v7, v9, v8
	v_bfi_b32 v8, 0xffff, v67, v61
	v_add_f16_e32 v95, v46, v100
	v_fmac_f16_e32 v101, 0xb1e1, v30
	v_fma_f16 v71, v45, 0x3b76, -v71
	v_pk_mul_f16 v84, 0x3b76bacd, v45
	v_add_f16_e32 v16, v47, v48
	v_add_f16_e32 v9, v11, v10
	v_pk_mul_f16 v11, 0xbbdd, v40 op_sel_hi:[0,1]
	v_pk_add_f16 v7, v8, v7
	v_bfi_b32 v8, 0xffff, v66, v60
	v_add_f16_e32 v95, v101, v95
	v_fmac_f16_e32 v98, 0x3bb2, v31
	v_add_f16_e32 v71, v71, v72
	v_pk_add_f16 v72, v4, v80 op_sel:[1,0] op_sel_hi:[0,1]
	v_pk_fma_f16 v82, 0xb83635c8, v33, v84 op_sel:[0,0,1] op_sel_hi:[1,1,0] neg_lo:[0,1,0] neg_hi:[0,1,0]
	v_pk_add_f16 v6, v6, v42
	v_pack_b32_f16 v9, v9, v16
	v_pk_fma_f16 v16, 0xb83635c8, v33, v84 op_sel:[0,0,1] op_sel_hi:[1,1,0]
	v_pk_fma_f16 v40, 0xb1e1, v29, v11 op_sel:[0,0,1] op_sel_hi:[0,1,0] neg_lo:[0,1,0] neg_hi:[0,1,0]
	v_pk_mul_f16 v42, 0x3b76, v43 op_sel_hi:[0,1]
	v_pk_add_f16 v7, v8, v7
	v_pk_fma_f16 v8, 0xb1e1, v29, v11 op_sel:[0,0,1] op_sel_hi:[0,1,0]
	v_add_f16_e32 v95, v98, v95
	v_fma_f16 v98, v34, 0xb461, -v105
	v_pk_add_f16 v72, v75, v72
	v_bfi_b32 v11, 0xffff, v16, v82
	v_pk_add_f16 v16, v4, v40 op_sel:[1,0] op_sel_hi:[0,1]
	v_pk_fma_f16 v29, 0x35c8, v30, v42 op_sel:[0,0,1] op_sel_hi:[0,1,0] neg_lo:[0,1,0] neg_hi:[0,1,0]
	v_pk_mul_f16 v34, 0xbacd, v34 op_sel_hi:[0,1]
	v_pk_add_f16 v4, v4, v8 op_sel:[1,0] op_sel_hi:[0,1]
	v_pk_fma_f16 v8, 0x35c8, v30, v42 op_sel:[0,0,1] op_sel_hi:[0,1,0]
	v_pk_add_f16 v72, v74, v72
	v_pk_add_f16 v7, v11, v7
	;; [unrolled: 1-line block ×3, first 2 shown]
	v_pk_fma_f16 v16, 0xb836, v31, v34 op_sel:[0,0,1] op_sel_hi:[0,1,0] neg_lo:[0,1,0] neg_hi:[0,1,0]
	v_pk_mul_f16 v29, 0x39e9, v36 op_sel_hi:[0,1]
	v_pk_add_f16 v4, v8, v4
	v_pk_fma_f16 v8, 0xb836, v31, v34 op_sel:[0,0,1] op_sel_hi:[0,1,0]
	v_add_f16_e32 v46, v46, v94
	v_fmac_f16_e32 v102, 0x35c8, v32
	v_add_f16_e32 v19, v98, v19
	v_fma_f16 v98, v36, 0x3b76, -v104
	v_fmac_f16_e64 v129, 0xb836, v32
	v_pk_add_f16 v72, v69, v72
	v_pk_add_f16 v11, v16, v11
	v_pk_fma_f16 v16, 0x3964, v32, v29 op_sel:[0,0,1] op_sel_hi:[0,1,0] neg_lo:[0,1,0] neg_hi:[0,1,0]
	v_pk_mul_f16 v31, 0xb8d2, v38 op_sel_hi:[0,1]
	v_pk_add_f16 v4, v8, v4
	v_pk_fma_f16 v8, 0x3964, v32, v29 op_sel:[0,0,1] op_sel_hi:[0,1,0]
	v_add_f16_e32 v46, v70, v46
	v_add_f16_e32 v95, v102, v95
	v_fmac_f16_e32 v97, 0xbb29, v35
	v_add_f16_e32 v19, v98, v19
	v_fma_f16 v96, v38, 0x3722, -v96
	v_add_f16_e64 v87, v129, v87
	v_fmac_f16_e32 v126, 0x3bf7, v35
	v_pk_add_f16 v72, v68, v72
	v_pk_add_f16 v11, v16, v11
	v_pk_fma_f16 v16, 0xba62, v35, v31 op_sel:[0,0,1] op_sel_hi:[0,1,0] neg_lo:[0,1,0] neg_hi:[0,1,0]
	v_pk_mul_f16 v29, 0x3722, v41 op_sel_hi:[0,1]
	v_pk_add_f16 v4, v8, v4
	v_pk_fma_f16 v8, 0xba62, v35, v31 op_sel:[0,0,1] op_sel_hi:[0,1,0]
	v_add_f16_e32 v46, v73, v46
	v_add_f16_e32 v95, v97, v95
	v_fmac_f16_e32 v103, 0xb836, v37
	v_add_f16_e32 v19, v96, v19
	v_fma_f16 v96, v41, 0xbacd, -v107
	v_add_f16_e32 v87, v126, v87
	v_fmac_f16_e32 v123, 0xb964, v37
	v_pk_add_f16 v72, v67, v72
	v_mul_f16_e32 v85, 0x3964, v33
	v_pk_add_f16 v11, v16, v11
	v_pk_fma_f16 v16, 0x3b29, v37, v29 op_sel:[0,0,1] op_sel_hi:[0,1,0] neg_lo:[0,1,0] neg_hi:[0,1,0]
	v_pk_mul_f16 v32, 0xb461, v44 op_sel_hi:[0,1]
	v_pk_add_f16 v4, v8, v4
	v_pk_fma_f16 v8, 0x3b29, v37, v29 op_sel:[0,0,1] op_sel_hi:[0,1,0]
	v_add_f16_e32 v46, v63, v46
	v_add_f16_e32 v95, v103, v95
	v_fmamk_f16 v98, v39, 0xba62, v93
	v_fmac_f16_e32 v93, 0x3a62, v39
	v_add_f16_e32 v19, v96, v19
	v_fma_f16 v96, v44, 0xb8d2, -v110
	v_add_f16_e32 v87, v123, v87
	v_fmac_f16_e64 v135, 0xb1e1, v39
	v_pk_mul_f16 v59, 0xb83635c8, v33
	v_pk_add_f16 v11, v16, v11
	v_pk_fma_f16 v16, 0xbbb2, v39, v32 op_sel:[0,0,1] op_sel_hi:[0,1,0] neg_lo:[0,1,0] neg_hi:[0,1,0]
	v_pk_mul_f16 v29, 0x2de8, v45 op_sel_hi:[0,1]
	v_pk_add_f16 v4, v8, v4
	v_pk_fma_f16 v8, 0xbbb2, v39, v32 op_sel:[0,0,1] op_sel_hi:[0,1,0]
	v_bfi_b32 v34, 0xffff, v85, v72
	v_add_f16_e32 v46, v62, v46
	v_fmac_f16_e32 v118, 0xba62, v33
	v_fma_f16 v97, v45, 0xb8d2, -v130
	v_add_f16_e32 v93, v93, v95
	v_fmamk_f16 v95, v33, 0x3964, v99
	v_add_f16_e32 v19, v96, v19
	v_fma_f16 v96, v45, 0x39e9, -v112
	v_fma_f16 v151, 0x3bb2, v33, v153
	v_fmac_f16_e64 v153, 0xbbb2, v33
	v_add_f16_e64 v87, v135, v87
	v_fmac_f16_e64 v138, 0x3b29, v33
	v_pk_add_f16 v11, v16, v11
	v_pk_fma_f16 v16, 0x3bf7, v33, v29 op_sel:[0,0,1] op_sel_hi:[0,1,0] neg_lo:[0,1,0] neg_hi:[0,1,0]
	v_pk_add_f16 v4, v8, v4
	v_pk_fma_f16 v8, 0x3bf7, v33, v29 op_sel:[0,0,1] op_sel_hi:[0,1,0]
	v_pack_b32_f16 v29, v98, v84
	v_bfi_b32 v14, 0xffff, v14, v59
	v_pk_add_f16 v33, v99, v34 neg_lo:[0,1] neg_hi:[0,1]
	v_pk_add_f16 v34, v66, v72
	v_add_f16_e32 v46, v61, v46
	v_add_f16_e32 v89, v118, v89
	;; [unrolled: 1-line block ×5, first 2 shown]
	v_fma_f16 v152, 0x3722, v45, v150
	v_add_f16_e64 v91, v153, v91
	v_add_f16_e64 v87, v138, v87
	v_lshl_add_u32 v10, v0, 6, v20
	v_pk_add_f16 v4, v8, v4
	v_pk_add_f16 v8, v29, v14
	v_bfi_b32 v14, 0xffff, v33, v34
	v_add_f16_e32 v46, v60, v46
	v_alignbit_b32 v30, v79, v7, 16
	v_pack_b32_f16 v7, v71, v7
	v_pack_b32_f16 v31, v92, v89
	;; [unrolled: 1-line block ×3, first 2 shown]
	v_pk_add_f16 v11, v16, v11
	v_add_f16_e64 v133, v152, v133
	v_add_f16_e64 v122, v151, v122
	v_pack_b32_f16 v32, v86, v91
	v_pack_b32_f16 v35, v88, v87
	ds_store_2addr_b32 v10, v6, v9 offset1:1
	ds_store_2addr_b32 v10, v7, v30 offset0:2 offset1:3
	ds_store_2addr_b32 v10, v19, v31 offset0:4 offset1:5
	;; [unrolled: 1-line block ×3, first 2 shown]
	v_pk_add_f16 v7, v14, v8
	v_add_f16_e32 v46, v82, v46
	v_alignbit_b32 v6, v11, v4, 16
	v_alignbit_b32 v4, v4, v11, 16
	v_pack_b32_f16 v8, v133, v17
	v_pack_b32_f16 v9, v90, v122
	;; [unrolled: 1-line block ×3, first 2 shown]
	v_alignbit_b32 v13, v18, v7, 16
	v_pack_b32_f16 v7, v12, v7
	v_pack_b32_f16 v5, v5, v46
	v_perm_b32 v12, v21, v1, 0x5040100
	ds_store_2addr_b32 v10, v4, v6 offset0:8 offset1:9
	ds_store_2addr_b32 v10, v9, v8 offset0:10 offset1:11
	ds_store_b32 v10, v11 offset:48
	ds_store_2addr_b32 v10, v7, v13 offset0:13 offset1:14
	ds_store_2addr_b32 v10, v5, v12 offset0:15 offset1:16
.LBB0_19:
	s_wait_alu 0xfffe
	s_or_b32 exec_lo, exec_lo, s1
	v_add_nc_u32_e32 v33, 0x253, v0
	v_add_nc_u32_e32 v32, 0x1dc, v0
	;; [unrolled: 1-line block ×5, first 2 shown]
	v_and_b32_e32 v7, 0xffff, v33
	v_add_nc_u32_e32 v38, 0x341, v0
	v_add_nc_u16 v34, v0, 0x77
	v_and_b32_e32 v10, 0xffff, v32
	v_and_b32_e32 v8, 0xffff, v36
	v_mul_u32_u24_e32 v42, 0xf0f1, v7
	v_and_b32_e32 v7, 0xffff, v31
	v_and_b32_e32 v5, 0xffff, v18
	;; [unrolled: 1-line block ×5, first 2 shown]
	v_mul_u32_u24_e32 v45, 0xf0f1, v10
	v_mul_u32_u24_e32 v43, 0xf0f1, v8
	v_lshrrev_b32_e32 v46, 20, v42
	v_mul_u32_u24_e32 v49, 0xf0f1, v7
	v_mul_u32_u24_e32 v19, 0xf0f1, v5
	;; [unrolled: 1-line block ×3, first 2 shown]
	v_mul_lo_u16 v37, 0xf1, v35
	v_mul_lo_u16 v14, 0xf1, v4
	v_lshrrev_b32_e32 v50, 20, v45
	v_lshrrev_b32_e32 v47, 20, v43
	v_mul_lo_u16 v7, v46, 17
	v_lshrrev_b32_e32 v51, 20, v49
	v_lshrrev_b32_e32 v41, 20, v19
	;; [unrolled: 1-line block ×3, first 2 shown]
	v_lshrrev_b16 v40, 12, v37
	v_lshrrev_b16 v39, 12, v14
	v_mul_lo_u16 v10, v50, 17
	v_mul_lo_u16 v8, v47, 17
	v_sub_nc_u16 v7, v33, v7
	v_mul_lo_u16 v11, v51, 17
	v_mul_lo_u16 v6, v41, 17
	;; [unrolled: 1-line block ×5, first 2 shown]
	v_sub_nc_u16 v10, v32, v10
	v_sub_nc_u16 v8, v36, v8
	v_and_b32_e32 v7, 0xffff, v7
	v_sub_nc_u16 v11, v31, v11
	v_sub_nc_u16 v6, v18, v6
	;; [unrolled: 1-line block ×5, first 2 shown]
	v_and_b32_e32 v10, 0xffff, v10
	v_and_b32_e32 v8, 0xffff, v8
	v_lshlrev_b32_e32 v52, 2, v7
	v_and_b32_e32 v7, 0xffff, v11
	v_and_b32_e32 v6, 0xffff, v6
	;; [unrolled: 1-line block ×5, first 2 shown]
	v_lshlrev_b32_e32 v55, 2, v10
	v_lshlrev_b32_e32 v53, 2, v8
	;; [unrolled: 1-line block ×7, first 2 shown]
	global_wb scope:SCOPE_SE
	s_wait_dscnt 0x0
	s_barrier_signal -1
	s_barrier_wait -1
	global_inv scope:SCOPE_SE
	s_clause 0x7
	global_load_b32 v56, v52, s[4:5]
	global_load_b32 v57, v53, s[4:5]
	;; [unrolled: 1-line block ×8, first 2 shown]
	v_add_nc_u32_e32 v68, 0xe00, v20
	v_add_nc_u32_e32 v69, 0x1200, v20
	;; [unrolled: 1-line block ×3, first 2 shown]
	ds_load_2addr_b32 v[4:5], v20 offset1:119
	ds_load_2addr_b32 v[6:7], v26 offset0:110 offset1:229
	ds_load_2addr_b32 v[8:9], v27 offset0:92 offset1:211
	;; [unrolled: 1-line block ×4, first 2 shown]
	v_lshrrev_b32_e32 v73, 21, v19
	v_lshrrev_b16 v71, 13, v14
	ds_load_2addr_b32 v[14:15], v68 offset0:56 offset1:175
	ds_load_2addr_b32 v[16:17], v69 offset0:38 offset1:157
	;; [unrolled: 1-line block ×3, first 2 shown]
	v_and_b32_e32 v39, 0xffff, v39
	v_and_b32_e32 v40, 0xffff, v40
	v_mul_lo_u16 v75, v73, 34
	v_lshrrev_b32_e32 v49, 21, v49
	v_mul_u32_u24_e32 v46, 0x88, v46
	v_mul_u32_u24_e32 v39, 0x88, v39
	;; [unrolled: 1-line block ×3, first 2 shown]
	v_sub_nc_u16 v75, v18, v75
	v_mul_u32_u24_e32 v40, 0x88, v40
	v_mul_u32_u24_e32 v41, 0x88, v41
	;; [unrolled: 1-line block ×4, first 2 shown]
	v_and_b32_e32 v75, 0xffff, v75
	v_mul_u32_u24_e32 v50, 0x88, v50
	v_mul_lo_u16 v76, v49, 34
	v_add3_u32 v39, 0, v39, v62
	v_add3_u32 v46, 0, v46, v52
	v_lshlrev_b32_e32 v62, 2, v75
	v_add3_u32 v40, 0, v40, v61
	v_add3_u32 v47, 0, v47, v53
	v_lshrrev_b32_e32 v45, 21, v45
	v_lshrrev_b32_e32 v42, 21, v42
	v_add3_u32 v41, 0, v41, v60
	v_add3_u32 v48, 0, v48, v54
	v_lshrrev_b32_e32 v43, 21, v43
	v_add3_u32 v51, 0, v51, v59
	v_add3_u32 v50, 0, v50, v55
	v_lshrrev_b32_e32 v44, 21, v44
	v_lshrrev_b16 v37, 13, v37
	v_sub_nc_u16 v31, v31, v76
	v_mul_lo_u16 v77, v45, 34
	v_mul_lo_u16 v78, v42, 34
	;; [unrolled: 1-line block ×6, first 2 shown]
	v_sub_nc_u16 v32, v32, v77
	v_sub_nc_u16 v33, v33, v78
	;; [unrolled: 1-line block ×6, first 2 shown]
	v_and_b32_e32 v32, 0xffff, v32
	v_and_b32_e32 v33, 0xffff, v33
	;; [unrolled: 1-line block ×7, first 2 shown]
	v_lshlrev_b32_e32 v32, 2, v32
	v_lshlrev_b32_e32 v33, 2, v33
	;; [unrolled: 1-line block ×5, first 2 shown]
	global_wb scope:SCOPE_SE
	s_wait_loadcnt_dscnt 0x0
	s_barrier_signal -1
	s_barrier_wait -1
	global_inv scope:SCOPE_SE
	v_cmp_gt_u32_e64 s0, 34, v0
	v_pk_mul_f16 v55, v29, v63 op_sel:[0,1]
	v_pk_mul_f16 v54, v30, v56 op_sel:[0,1]
	;; [unrolled: 1-line block ×8, first 2 shown]
	v_pk_fma_f16 v76, v13, v58, v52 op_sel:[0,0,1] op_sel_hi:[1,1,0] neg_lo:[0,0,1] neg_hi:[0,0,1]
	v_pk_fma_f16 v13, v13, v58, v52 op_sel:[0,0,1] op_sel_hi:[1,0,0]
	v_pk_fma_f16 v58, v67, v14, v75 op_sel:[0,0,1] op_sel_hi:[1,1,0] neg_lo:[0,0,1] neg_hi:[0,0,1]
	v_pk_fma_f16 v14, v67, v14, v75 op_sel:[0,0,1] op_sel_hi:[1,0,0]
	;; [unrolled: 2-line block ×8, first 2 shown]
	v_bfi_b32 v14, 0xffff, v58, v14
	v_bfi_b32 v15, 0xffff, v57, v15
	;; [unrolled: 1-line block ×8, first 2 shown]
	v_pk_add_f16 v14, v4, v14 neg_lo:[0,1] neg_hi:[0,1]
	v_pk_add_f16 v15, v5, v15 neg_lo:[0,1] neg_hi:[0,1]
	;; [unrolled: 1-line block ×8, first 2 shown]
	v_pk_fma_f16 v4, v4, 2.0, v14 op_sel_hi:[1,0,1] neg_lo:[0,0,1] neg_hi:[0,0,1]
	v_pk_fma_f16 v5, v5, 2.0, v15 op_sel_hi:[1,0,1] neg_lo:[0,0,1] neg_hi:[0,0,1]
	;; [unrolled: 1-line block ×8, first 2 shown]
	ds_store_2addr_b32 v39, v4, v14 offset1:17
	ds_store_2addr_b32 v40, v5, v15 offset1:17
	;; [unrolled: 1-line block ×8, first 2 shown]
	v_lshlrev_b32_e32 v8, 2, v74
	v_lshlrev_b32_e32 v6, 2, v72
	global_wb scope:SCOPE_SE
	s_wait_dscnt 0x0
	s_barrier_signal -1
	s_barrier_wait -1
	global_inv scope:SCOPE_SE
	s_clause 0x7
	global_load_b32 v30, v33, s[4:5] offset:68
	global_load_b32 v39, v36, s[4:5] offset:68
	;; [unrolled: 1-line block ×8, first 2 shown]
	v_and_b32_e32 v4, 0xffff, v71
	v_mul_u32_u24_e32 v10, 0x110, v73
	v_mul_u32_u24_e32 v14, 0x110, v42
	;; [unrolled: 1-line block ×5, first 2 shown]
	v_and_b32_e32 v4, 0xffff, v37
	v_add3_u32 v43, 0, v10, v62
	ds_load_2addr_b32 v[10:11], v68 offset0:56 offset1:175
	v_mul_u32_u24_e32 v13, 0x110, v45
	v_add3_u32 v37, 0, v7, v6
	v_mul_u32_u24_e32 v9, 0x110, v4
	ds_load_2addr_b32 v[4:5], v23 offset0:130 offset1:249
	ds_load_2addr_b32 v[6:7], v70 offset0:20 offset1:139
	v_mul_u32_u24_e32 v16, 0x110, v44
	v_add3_u32 v31, 0, v12, v31
	v_add3_u32 v42, 0, v9, v8
	ds_load_2addr_b32 v[8:9], v69 offset0:38 offset1:157
	v_add3_u32 v32, 0, v13, v32
	v_add3_u32 v33, 0, v14, v33
	;; [unrolled: 1-line block ×4, first 2 shown]
	ds_load_2addr_b32 v[12:13], v20 offset1:119
	ds_load_2addr_b32 v[14:15], v26 offset0:110 offset1:229
	ds_load_2addr_b32 v[16:17], v27 offset0:92 offset1:211
	;; [unrolled: 1-line block ×3, first 2 shown]
	v_add_nc_u32_e32 v51, 0x400, v20
	v_add_nc_u32_e32 v52, 0x800, v20
	global_wb scope:SCOPE_SE
	s_wait_loadcnt_dscnt 0x0
	s_barrier_signal -1
	s_barrier_wait -1
	global_inv scope:SCOPE_SE
	v_pk_mul_f16 v45, v6, v41 op_sel:[0,1]
	v_pk_mul_f16 v44, v7, v30 op_sel:[0,1]
	;; [unrolled: 1-line block ×8, first 2 shown]
	v_pk_fma_f16 v56, v5, v40, v26 op_sel:[0,0,1] op_sel_hi:[1,1,0] neg_lo:[0,0,1] neg_hi:[0,0,1]
	v_pk_fma_f16 v5, v5, v40, v26 op_sel:[0,0,1] op_sel_hi:[1,0,0]
	v_pk_fma_f16 v26, v4, v39, v27 op_sel:[0,0,1] op_sel_hi:[1,1,0] neg_lo:[0,0,1] neg_hi:[0,0,1]
	v_pk_fma_f16 v4, v4, v39, v27 op_sel:[0,0,1] op_sel_hi:[1,0,0]
	v_pk_fma_f16 v27, v7, v30, v44 op_sel:[0,0,1] op_sel_hi:[1,1,0] neg_lo:[0,0,1] neg_hi:[0,0,1]
	v_pk_fma_f16 v7, v7, v30, v44 op_sel:[0,0,1] op_sel_hi:[1,0,0]
	v_pk_fma_f16 v39, v46, v9, v49 op_sel:[0,0,1] op_sel_hi:[1,1,0] neg_lo:[0,0,1] neg_hi:[0,0,1]
	v_pk_fma_f16 v9, v46, v9, v49 op_sel:[0,0,1] op_sel_hi:[1,0,0]
	v_pk_fma_f16 v44, v50, v10, v55 op_sel:[0,0,1] op_sel_hi:[1,1,0] neg_lo:[0,0,1] neg_hi:[0,0,1]
	v_pk_fma_f16 v10, v50, v10, v55 op_sel:[0,0,1] op_sel_hi:[1,0,0]
	v_pk_fma_f16 v30, v6, v41, v45 op_sel:[0,0,1] op_sel_hi:[1,1,0] neg_lo:[0,0,1] neg_hi:[0,0,1]
	v_pk_fma_f16 v6, v6, v41, v45 op_sel:[0,0,1] op_sel_hi:[1,0,0]
	v_pk_fma_f16 v41, v48, v11, v54 op_sel:[0,0,1] op_sel_hi:[1,1,0] neg_lo:[0,0,1] neg_hi:[0,0,1]
	v_pk_fma_f16 v11, v48, v11, v54 op_sel:[0,0,1] op_sel_hi:[1,0,0]
	v_pk_fma_f16 v40, v47, v8, v53 op_sel:[0,0,1] op_sel_hi:[1,1,0] neg_lo:[0,0,1] neg_hi:[0,0,1]
	v_pk_fma_f16 v8, v47, v8, v53 op_sel:[0,0,1] op_sel_hi:[1,0,0]
	v_bfi_b32 v5, 0xffff, v56, v5
	v_bfi_b32 v7, 0xffff, v27, v7
	;; [unrolled: 1-line block ×8, first 2 shown]
	v_pk_add_f16 v27, v29, v5 neg_lo:[0,1] neg_hi:[0,1]
	v_pk_add_f16 v5, v17, v7 neg_lo:[0,1] neg_hi:[0,1]
	;; [unrolled: 1-line block ×8, first 2 shown]
	v_pk_fma_f16 v12, v12, 2.0, v9 op_sel_hi:[1,0,1] neg_lo:[0,0,1] neg_hi:[0,0,1]
	v_pk_fma_f16 v13, v13, 2.0, v10 op_sel_hi:[1,0,1] neg_lo:[0,0,1] neg_hi:[0,0,1]
	;; [unrolled: 1-line block ×8, first 2 shown]
	ds_store_2addr_b32 v37, v12, v9 offset1:34
	ds_store_2addr_b32 v42, v13, v10 offset1:34
	;; [unrolled: 1-line block ×8, first 2 shown]
	global_wb scope:SCOPE_SE
	s_wait_dscnt 0x0
	s_barrier_signal -1
	s_barrier_wait -1
	global_inv scope:SCOPE_SE
	ds_load_2addr_b32 v[4:5], v20 offset1:119
	ds_load_2addr_b32 v[16:17], v51 offset0:16 offset1:135
	ds_load_2addr_b32 v[14:15], v52 offset0:32 offset1:151
	;; [unrolled: 1-line block ×6, first 2 shown]
	v_lshrrev_b32_e32 v22, 16, v26
	v_lshrrev_b32_e32 v23, 16, v27
                                        ; implicit-def: $vgpr28
                                        ; implicit-def: $vgpr24
                                        ; implicit-def: $vgpr33
                                        ; implicit-def: $vgpr31
                                        ; implicit-def: $vgpr30
                                        ; implicit-def: $vgpr29
                                        ; implicit-def: $vgpr32
                                        ; implicit-def: $vgpr25
	s_and_saveexec_b32 s1, s0
	s_cbranch_execz .LBB0_21
; %bb.20:
	ds_load_b32 v26, v20 offset:952
	ds_load_b32 v27, v20 offset:2040
	;; [unrolled: 1-line block ×7, first 2 shown]
	s_wait_dscnt 0x6
	v_lshrrev_b32_e32 v22, 16, v26
	s_wait_dscnt 0x5
	v_lshrrev_b32_e32 v23, 16, v27
	;; [unrolled: 2-line block ×7, first 2 shown]
.LBB0_21:
	s_wait_alu 0xfffe
	s_or_b32 exec_lo, exec_lo, s1
	v_add_nc_u32_e32 v36, 0xffffffbc, v0
	v_cmp_gt_u32_e64 s1, 0x44, v0
	v_mul_lo_u16 v37, 0x79, v35
	s_wait_dscnt 0x5
	v_lshrrev_b32_e32 v53, 16, v16
	s_wait_dscnt 0x4
	v_lshrrev_b32_e32 v54, 16, v14
	;; [unrolled: 2-line block ×3, first 2 shown]
	s_wait_alu 0xf1ff
	v_cndmask_b32_e64 v46, v36, v0, s1
	v_lshrrev_b16 v47, 13, v37
	v_mov_b32_e32 v36, 0
	s_wait_dscnt 0x2
	v_lshrrev_b32_e32 v56, 16, v10
	s_wait_dscnt 0x1
	v_lshrrev_b32_e32 v58, 16, v8
	v_mul_i32_i24_e32 v35, 6, v46
	v_mul_lo_u16 v37, 0x44, v47
	v_and_b32_e32 v47, 0xffff, v47
	v_lshlrev_b32_e32 v46, 2, v46
	s_wait_dscnt 0x0
	v_lshrrev_b32_e32 v59, 16, v6
	v_lshlrev_b64_e32 v[35:36], 2, v[35:36]
	v_sub_nc_u16 v40, v34, v37
	v_lshrrev_b32_e32 v51, 16, v9
	v_lshrrev_b32_e32 v52, 16, v7
	;; [unrolled: 1-line block ×4, first 2 shown]
	v_add_co_u32 v38, s1, s4, v35
	s_wait_alu 0xf1ff
	v_add_co_ci_u32_e64 v39, s1, s5, v36, s1
	v_and_b32_e32 v48, 0xff, v40
	v_cmp_lt_u32_e64 s1, 0x43, v0
	v_lshrrev_b32_e32 v50, 16, v11
	s_clause 0x1
	global_load_b128 v[34:37], v[38:39], off offset:204
	global_load_b64 v[42:43], v[38:39], off offset:220
	v_mul_u32_u24_e32 v38, 6, v48
	s_wait_alu 0xf1ff
	v_cndmask_b32_e64 v57, 0, 0x770, s1
	v_lshrrev_b32_e32 v61, 16, v4
	v_lshrrev_b32_e32 v62, 16, v5
	v_mul_u32_u24_e32 v47, 0x770, v47
	v_lshlrev_b32_e32 v44, 2, v38
	v_add3_u32 v46, 0, v57, v46
	s_clause 0x1
	global_load_b128 v[38:41], v44, s[4:5] offset:204
	global_load_b64 v[44:45], v44, s[4:5] offset:220
	v_lshrrev_b32_e32 v57, 16, v15
	v_lshlrev_b32_e32 v48, 2, v48
	v_add_nc_u32_e32 v63, 0x400, v46
	global_wb scope:SCOPE_SE
	s_wait_loadcnt 0x0
	s_barrier_signal -1
	s_barrier_wait -1
	v_add3_u32 v47, 0, v47, v48
	global_inv scope:SCOPE_SE
	v_add_nc_u32_e32 v48, 0x400, v47
	v_lshrrev_b32_e32 v64, 16, v34
	v_lshrrev_b32_e32 v65, 16, v35
	;; [unrolled: 1-line block ×6, first 2 shown]
	v_mul_f16_e32 v70, v64, v53
	v_mul_f16_e32 v64, v64, v16
	;; [unrolled: 1-line block ×12, first 2 shown]
	v_lshrrev_b32_e32 v76, 16, v38
	v_lshrrev_b32_e32 v77, 16, v39
	;; [unrolled: 1-line block ×6, first 2 shown]
	v_fma_f16 v16, v34, v16, -v70
	v_fmac_f16_e32 v64, v34, v53
	v_fma_f16 v14, v35, v14, -v71
	v_fmac_f16_e32 v65, v35, v54
	;; [unrolled: 2-line block ×6, first 2 shown]
	v_mul_f16_e32 v34, v76, v60
	v_mul_f16_e32 v35, v76, v17
	;; [unrolled: 1-line block ×12, first 2 shown]
	v_add_f16_e32 v70, v16, v6
	v_add_f16_e32 v71, v64, v69
	v_sub_f16_e32 v6, v16, v6
	v_sub_f16_e32 v16, v64, v69
	v_add_f16_e32 v64, v14, v8
	v_add_f16_e32 v69, v65, v68
	v_sub_f16_e32 v8, v14, v8
	v_sub_f16_e32 v14, v65, v68
	v_add_f16_e32 v65, v12, v10
	v_sub_f16_e32 v10, v10, v12
	v_sub_f16_e32 v12, v67, v66
	v_fma_f16 v17, v38, v17, -v34
	v_fmac_f16_e32 v35, v38, v60
	v_fma_f16 v15, v39, v15, -v36
	v_fmac_f16_e32 v37, v39, v57
	;; [unrolled: 2-line block ×4, first 2 shown]
	v_add_f16_e32 v68, v66, v67
	v_fma_f16 v13, v13, v40, -v42
	v_fmac_f16_e32 v43, v49, v40
	v_fma_f16 v11, v11, v41, -v53
	v_fmac_f16_e32 v54, v50, v41
	v_add_f16_e32 v34, v64, v70
	v_add_f16_e32 v36, v69, v71
	v_sub_f16_e32 v40, v70, v65
	v_sub_f16_e32 v42, v65, v64
	v_add_f16_e32 v45, v10, v8
	v_add_f16_e32 v49, v12, v14
	v_sub_f16_e32 v50, v10, v8
	v_sub_f16_e32 v51, v12, v14
	;; [unrolled: 1-line block ×3, first 2 shown]
	v_add_f16_e32 v52, v17, v7
	v_add_f16_e32 v53, v35, v59
	v_sub_f16_e32 v7, v17, v7
	v_sub_f16_e32 v17, v35, v59
	v_add_f16_e32 v35, v15, v9
	v_add_f16_e32 v55, v37, v56
	v_sub_f16_e32 v38, v64, v70
	v_sub_f16_e32 v41, v71, v68
	;; [unrolled: 1-line block ×8, first 2 shown]
	v_add_f16_e32 v37, v13, v11
	v_add_f16_e32 v56, v43, v54
	v_sub_f16_e32 v11, v11, v13
	v_sub_f16_e32 v13, v54, v43
	v_add_f16_e32 v34, v65, v34
	v_add_f16_e32 v36, v68, v36
	;; [unrolled: 1-line block ×3, first 2 shown]
	v_mul_f16_e32 v40, 0x3a52, v40
	v_mul_f16_e32 v43, 0x2b26, v42
	;; [unrolled: 1-line block ×5, first 2 shown]
	v_add_f16_e32 v57, v35, v52
	v_add_f16_e32 v58, v55, v53
	v_sub_f16_e32 v39, v69, v71
	v_add_f16_e32 v6, v45, v6
	v_mul_f16_e32 v41, 0x3a52, v41
	v_mul_f16_e32 v45, 0x2b26, v44
	;; [unrolled: 1-line block ×3, first 2 shown]
	v_sub_f16_e32 v59, v35, v52
	v_sub_f16_e32 v60, v55, v53
	;; [unrolled: 1-line block ×5, first 2 shown]
	v_add_f16_e32 v64, v11, v9
	v_add_f16_e32 v65, v13, v15
	v_sub_f16_e32 v66, v11, v9
	v_sub_f16_e32 v67, v13, v15
	v_sub_f16_e32 v9, v9, v7
	v_sub_f16_e32 v15, v15, v17
	v_add_f16_e32 v4, v34, v4
	v_add_f16_e32 v61, v36, v61
	v_fmamk_f16 v42, v42, 0x2b26, v40
	v_fma_f16 v43, v38, 0x39e0, -v43
	v_fma_f16 v38, v38, 0xb9e0, -v40
	v_fmamk_f16 v40, v10, 0x3574, v49
	v_fma_f16 v8, v8, 0x3b00, -v49
	v_fma_f16 v10, v10, 0xb574, -v51
	v_add_f16_e32 v37, v37, v57
	v_add_f16_e32 v49, v56, v58
	v_sub_f16_e32 v55, v56, v55
	v_sub_f16_e32 v11, v7, v11
	;; [unrolled: 1-line block ×3, first 2 shown]
	v_fmamk_f16 v44, v44, 0x2b26, v41
	v_fma_f16 v45, v39, 0x39e0, -v45
	v_fma_f16 v39, v39, 0xb9e0, -v41
	v_fmamk_f16 v41, v12, 0x3574, v50
	v_fma_f16 v14, v14, 0x3b00, -v50
	v_fma_f16 v12, v12, 0xb574, -v54
	v_mul_f16_e32 v50, 0x3a52, v52
	v_mul_f16_e32 v51, 0x3a52, v53
	;; [unrolled: 1-line block ×7, first 2 shown]
	v_fmamk_f16 v34, v34, 0xbcab, v4
	v_fmamk_f16 v36, v36, 0xbcab, v61
	v_fmac_f16_e32 v40, 0x370e, v6
	v_fmac_f16_e32 v8, 0x370e, v6
	;; [unrolled: 1-line block ×3, first 2 shown]
	v_add_f16_e32 v5, v37, v5
	v_add_f16_e32 v6, v49, v62
	v_mul_f16_e32 v53, 0x2b26, v55
	v_add_f16_e32 v7, v64, v7
	v_add_f16_e32 v17, v65, v17
	v_fmac_f16_e32 v41, 0x370e, v16
	v_fmac_f16_e32 v14, 0x370e, v16
	;; [unrolled: 1-line block ×3, first 2 shown]
	v_fmamk_f16 v16, v35, 0x2b26, v50
	v_fmamk_f16 v35, v55, 0x2b26, v51
	v_fma_f16 v52, v59, 0x39e0, -v52
	v_fma_f16 v50, v59, 0xb9e0, -v50
	v_fmamk_f16 v55, v11, 0x3574, v54
	v_fmamk_f16 v59, v13, 0x3574, v56
	v_fma_f16 v9, v9, 0x3b00, -v54
	v_fma_f16 v15, v15, 0x3b00, -v56
	;; [unrolled: 1-line block ×4, first 2 shown]
	v_add_f16_e32 v42, v42, v34
	v_add_f16_e32 v44, v44, v36
	v_add_f16_e32 v43, v43, v34
	v_add_f16_e32 v45, v45, v36
	v_add_f16_e32 v34, v38, v34
	v_add_f16_e32 v36, v39, v36
	v_fmamk_f16 v37, v37, 0xbcab, v5
	v_fmamk_f16 v38, v49, 0xbcab, v6
	v_fma_f16 v53, v60, 0x39e0, -v53
	v_fma_f16 v51, v60, 0xb9e0, -v51
	v_fmac_f16_e32 v55, 0x370e, v7
	v_fmac_f16_e32 v59, 0x370e, v17
	;; [unrolled: 1-line block ×6, first 2 shown]
	v_pack_b32_f16 v5, v5, v6
	v_add_f16_e32 v6, v41, v42
	v_sub_f16_e32 v7, v44, v40
	v_add_f16_e32 v17, v12, v34
	v_sub_f16_e32 v39, v36, v10
	v_sub_f16_e32 v49, v43, v14
	v_add_f16_e32 v54, v8, v45
	v_add_f16_e32 v14, v14, v43
	v_sub_f16_e32 v8, v45, v8
	v_sub_f16_e32 v12, v34, v12
	v_add_f16_e32 v10, v10, v36
	v_sub_f16_e32 v34, v42, v41
	v_add_f16_e32 v36, v40, v44
	v_add_f16_e32 v16, v16, v37
	;; [unrolled: 1-line block ×7, first 2 shown]
	v_pack_b32_f16 v4, v4, v61
	v_pack_b32_f16 v6, v6, v7
	;; [unrolled: 1-line block ×5, first 2 shown]
	v_add_f16_e32 v14, v59, v16
	v_sub_f16_e32 v34, v35, v55
	v_pack_b32_f16 v7, v17, v39
	v_pack_b32_f16 v17, v49, v54
	v_add_f16_e32 v36, v13, v37
	v_sub_f16_e32 v39, v38, v11
	v_sub_f16_e32 v42, v40, v15
	v_add_f16_e32 v43, v9, v41
	v_add_f16_e32 v15, v15, v40
	v_sub_f16_e32 v9, v41, v9
	v_sub_f16_e32 v13, v37, v13
	v_add_f16_e32 v11, v11, v38
	v_sub_f16_e32 v16, v16, v59
	v_add_f16_e32 v35, v55, v35
	ds_store_2addr_b32 v46, v4, v6 offset1:68
	ds_store_2addr_b32 v46, v7, v17 offset0:136 offset1:204
	ds_store_2addr_b32 v63, v8, v10 offset0:16 offset1:84
	v_pack_b32_f16 v4, v14, v34
	v_pack_b32_f16 v6, v36, v39
	;; [unrolled: 1-line block ×6, first 2 shown]
	ds_store_b32 v46, v12 offset:1632
	ds_store_2addr_b32 v47, v5, v4 offset1:68
	ds_store_2addr_b32 v47, v6, v7 offset0:136 offset1:204
	ds_store_2addr_b32 v48, v8, v9 offset0:16 offset1:84
	ds_store_b32 v47, v10 offset:1632
	s_and_saveexec_b32 s1, s0
	s_cbranch_execz .LBB0_23
; %bb.22:
	v_lshrrev_b32_e32 v4, 22, v19
	s_delay_alu instid0(VALU_DEP_1) | instskip(NEXT) | instid1(VALU_DEP_1)
	v_mul_lo_u16 v4, 0x44, v4
	v_sub_nc_u16 v4, v18, v4
	s_delay_alu instid0(VALU_DEP_1) | instskip(NEXT) | instid1(VALU_DEP_1)
	v_and_b32_e32 v10, 0xffff, v4
	v_mul_u32_u24_e32 v4, 6, v10
	v_lshl_add_u32 v10, v10, 2, 0
	s_delay_alu instid0(VALU_DEP_2) | instskip(NEXT) | instid1(VALU_DEP_2)
	v_lshlrev_b32_e32 v8, 2, v4
	v_add_nc_u32_e32 v11, 0x1400, v10
	v_add_nc_u32_e32 v12, 0x1800, v10
	s_clause 0x1
	global_load_b128 v[4:7], v8, s[4:5] offset:204
	global_load_b64 v[8:9], v8, s[4:5] offset:220
	s_wait_loadcnt 0x1
	v_lshrrev_b32_e32 v13, 16, v4
	v_lshrrev_b32_e32 v14, 16, v5
	s_wait_loadcnt 0x0
	v_lshrrev_b32_e32 v15, 16, v9
	v_lshrrev_b32_e32 v18, 16, v8
	;; [unrolled: 1-line block ×4, first 2 shown]
	v_mul_f16_e32 v19, v23, v13
	v_mul_f16_e32 v34, v33, v15
	;; [unrolled: 1-line block ×12, first 2 shown]
	v_fma_f16 v19, v27, v4, -v19
	v_fma_f16 v27, v31, v9, -v34
	;; [unrolled: 1-line block ×4, first 2 shown]
	v_fmac_f16_e32 v15, v33, v9
	v_fmac_f16_e32 v13, v23, v4
	;; [unrolled: 1-line block ×4, first 2 shown]
	v_fma_f16 v24, v24, v7, -v35
	v_fma_f16 v25, v25, v6, -v36
	v_fmac_f16_e32 v17, v32, v6
	v_fmac_f16_e32 v16, v28, v7
	v_sub_f16_e32 v4, v19, v27
	v_sub_f16_e32 v6, v1, v29
	v_add_f16_e32 v7, v13, v15
	v_add_f16_e32 v9, v14, v18
	;; [unrolled: 1-line block ×4, first 2 shown]
	v_sub_f16_e32 v5, v24, v25
	v_add_f16_e32 v8, v17, v16
	v_add_f16_e32 v21, v25, v24
	v_sub_f16_e32 v13, v13, v15
	v_sub_f16_e32 v15, v16, v17
	;; [unrolled: 1-line block ×3, first 2 shown]
	v_add_f16_e32 v24, v9, v7
	v_add_f16_e32 v28, v1, v19
	v_sub_f16_e32 v16, v4, v5
	v_sub_f16_e32 v17, v5, v6
	v_add_f16_e32 v5, v5, v6
	v_sub_f16_e32 v18, v7, v8
	v_sub_f16_e32 v23, v8, v9
	;; [unrolled: 1-line block ×6, first 2 shown]
	v_add_f16_e32 v15, v15, v14
	v_sub_f16_e32 v6, v6, v4
	v_sub_f16_e32 v7, v9, v7
	;; [unrolled: 1-line block ×3, first 2 shown]
	v_add_f16_e32 v8, v8, v24
	v_add_f16_e32 v21, v21, v28
	v_sub_f16_e32 v1, v1, v19
	v_mul_f16_e32 v14, 0xb846, v17
	v_add_f16_e32 v4, v5, v4
	v_mul_f16_e32 v5, 0x3a52, v18
	v_mul_f16_e32 v17, 0x2b26, v23
	;; [unrolled: 1-line block ×4, first 2 shown]
	v_add_f16_e32 v13, v15, v13
	v_mul_f16_e32 v15, 0x3b00, v6
	v_mul_f16_e32 v25, 0x3b00, v9
	v_add_f16_e32 v22, v22, v8
	v_add_f16_e32 v26, v26, v21
	v_mul_f16_e32 v19, 0x2b26, v27
	v_fmamk_f16 v28, v16, 0x3574, v14
	v_fmamk_f16 v23, v23, 0x2b26, v5
	v_fmamk_f16 v27, v27, 0x2b26, v18
	v_fmamk_f16 v30, v29, 0x3574, v24
	v_fma_f16 v15, v16, 0xb574, -v15
	v_fma_f16 v5, v7, 0xb9e0, -v5
	;; [unrolled: 1-line block ×7, first 2 shown]
	v_fmamk_f16 v8, v8, 0xbcab, v22
	v_fmamk_f16 v14, v21, 0xbcab, v26
	v_fma_f16 v1, v1, 0x39e0, -v19
	v_fmac_f16_e32 v28, 0x370e, v4
	v_fmac_f16_e32 v30, 0x370e, v13
	;; [unrolled: 1-line block ×5, first 2 shown]
	v_add_f16_e32 v13, v23, v8
	v_add_f16_e32 v17, v27, v14
	;; [unrolled: 1-line block ×3, first 2 shown]
	v_fmac_f16_e32 v15, 0x370e, v4
	v_add_f16_e32 v5, v5, v8
	v_add_f16_e32 v16, v16, v14
	;; [unrolled: 1-line block ×4, first 2 shown]
	v_sub_f16_e32 v21, v7, v6
	v_add_f16_e32 v6, v6, v7
	v_sub_f16_e32 v7, v13, v28
	v_add_f16_e32 v13, v30, v17
	;; [unrolled: 2-line block ×5, first 2 shown]
	v_sub_f16_e32 v9, v16, v18
	v_pack_b32_f16 v4, v26, v22
	v_pack_b32_f16 v7, v13, v7
	;; [unrolled: 1-line block ×7, first 2 shown]
	ds_store_2addr_b32 v11, v4, v7 offset0:148 offset1:216
	ds_store_2addr_b32 v12, v5, v6 offset0:28 offset1:96
	ds_store_2addr_b32 v12, v1, v9 offset0:164 offset1:232
	ds_store_b32 v10, v8 offset:7344
.LBB0_23:
	s_wait_alu 0xfffe
	s_or_b32 exec_lo, exec_lo, s1
	v_mul_u32_u24_e32 v1, 3, v0
	global_wb scope:SCOPE_SE
	s_wait_dscnt 0x0
	s_barrier_signal -1
	s_barrier_wait -1
	global_inv scope:SCOPE_SE
	v_lshlrev_b32_e32 v1, 2, v1
	v_add_nc_u32_e32 v33, 0xe00, v20
	v_add_nc_u32_e32 v34, 0x1600, v20
	;; [unrolled: 1-line block ×4, first 2 shown]
	s_clause 0x3
	global_load_b96 v[4:6], v1, s[4:5] offset:1836
	global_load_b96 v[7:9], v1, s[4:5] offset:3264
	;; [unrolled: 1-line block ×4, first 2 shown]
	v_add_nc_u32_e32 v1, 0x600, v20
	v_add_nc_u32_e32 v36, 0x1200, v20
	;; [unrolled: 1-line block ×3, first 2 shown]
	ds_load_2addr_b32 v[16:17], v20 offset1:119
	ds_load_2addr_b32 v[18:19], v33 offset0:56 offset1:175
	ds_load_2addr_b32 v[21:22], v34 offset0:20 offset1:139
	ds_load_2addr_b32 v[23:24], v35 offset0:74 offset1:193
	ds_load_2addr_b32 v[25:26], v36 offset0:38 offset1:157
	ds_load_2addr_b32 v[27:28], v37 offset0:130 offset1:249
	ds_load_2addr_b32 v[29:30], v1 offset0:92 offset1:211
	ds_load_2addr_b32 v[31:32], v38 offset0:110 offset1:229
	global_wb scope:SCOPE_SE
	s_wait_loadcnt_dscnt 0x0
	s_barrier_signal -1
	s_barrier_wait -1
	global_inv scope:SCOPE_SE
	v_lshrrev_b32_e32 v41, 16, v19
	v_lshrrev_b32_e32 v42, 16, v22
	v_lshrrev_b32_e32 v50, 16, v18
	v_lshrrev_b32_e32 v51, 16, v21
	v_lshrrev_b32_e32 v49, 16, v29
	v_lshrrev_b32_e32 v52, 16, v30
	v_lshrrev_b32_e32 v43, 16, v23
	v_lshrrev_b32_e32 v44, 16, v25
	v_lshrrev_b32_e32 v45, 16, v27
	v_lshrrev_b32_e32 v46, 16, v24
	v_lshrrev_b32_e32 v47, 16, v26
	v_lshrrev_b32_e32 v48, 16, v28
	v_lshrrev_b32_e32 v39, 16, v16
	v_lshrrev_b32_e32 v40, 16, v17
	v_lshrrev_b32_e32 v53, 16, v31
	v_lshrrev_b32_e32 v54, 16, v32
	v_lshrrev_b32_e32 v55, 16, v4
	v_lshrrev_b32_e32 v56, 16, v5
	v_lshrrev_b32_e32 v57, 16, v6
	v_lshrrev_b32_e32 v58, 16, v7
	v_lshrrev_b32_e32 v59, 16, v8
	v_lshrrev_b32_e32 v60, 16, v9
	v_lshrrev_b32_e32 v61, 16, v10
	v_lshrrev_b32_e32 v62, 16, v11
	v_lshrrev_b32_e32 v63, 16, v12
	v_lshrrev_b32_e32 v64, 16, v13
	v_lshrrev_b32_e32 v65, 16, v14
	v_lshrrev_b32_e32 v66, 16, v15
	v_mul_f16_e32 v67, v55, v49
	v_mul_f16_e32 v55, v55, v29
	;; [unrolled: 1-line block ×24, first 2 shown]
	v_fma_f16 v29, v4, v29, -v67
	v_fmac_f16_e32 v55, v4, v49
	v_fma_f16 v4, v5, v18, -v68
	v_fmac_f16_e32 v56, v5, v50
	v_fma_f16 v5, v6, v21, -v69
	v_fmac_f16_e32 v57, v6, v51
	v_fma_f16 v6, v7, v30, -v70
	v_fmac_f16_e32 v58, v7, v52
	v_fma_f16 v7, v19, v8, -v71
	v_fmac_f16_e32 v59, v41, v8
	v_fma_f16 v8, v22, v9, -v72
	v_fmac_f16_e32 v60, v42, v9
	v_fma_f16 v9, v23, v10, -v73
	v_fmac_f16_e32 v61, v43, v10
	v_fma_f16 v10, v25, v11, -v74
	v_fmac_f16_e32 v62, v44, v11
	v_fma_f16 v11, v27, v12, -v75
	v_fmac_f16_e32 v63, v45, v12
	v_fma_f16 v12, v24, v13, -v76
	v_fmac_f16_e32 v64, v46, v13
	v_fma_f16 v13, v26, v14, -v77
	v_fmac_f16_e32 v65, v47, v14
	v_fma_f16 v14, v28, v15, -v78
	v_fmac_f16_e32 v66, v48, v15
	v_sub_f16_e32 v4, v16, v4
	v_sub_f16_e32 v15, v39, v56
	;; [unrolled: 1-line block ×16, first 2 shown]
	v_fma_f16 v16, v16, 2.0, -v4
	v_fma_f16 v26, v39, 2.0, -v15
	;; [unrolled: 1-line block ×8, first 2 shown]
	v_sub_f16_e32 v18, v4, v18
	v_add_f16_e32 v5, v15, v5
	v_sub_f16_e32 v21, v7, v21
	v_add_f16_e32 v8, v19, v8
	v_fma_f16 v31, v31, 2.0, -v10
	v_fma_f16 v39, v53, 2.0, -v22
	v_fma_f16 v9, v9, 2.0, -v11
	v_fma_f16 v40, v61, 2.0, -v23
	v_fma_f16 v32, v32, 2.0, -v13
	v_fma_f16 v41, v54, 2.0, -v24
	v_fma_f16 v12, v12, 2.0, -v14
	v_fma_f16 v42, v64, 2.0, -v25
	v_sub_f16_e32 v23, v10, v23
	v_add_f16_e32 v11, v22, v11
	v_sub_f16_e32 v25, v13, v25
	v_add_f16_e32 v14, v24, v14
	v_sub_f16_e32 v27, v16, v27
	v_sub_f16_e32 v28, v26, v28
	;; [unrolled: 1-line block ×4, first 2 shown]
	v_fma_f16 v4, v4, 2.0, -v18
	v_fma_f16 v15, v15, 2.0, -v5
	;; [unrolled: 1-line block ×4, first 2 shown]
	v_sub_f16_e32 v9, v31, v9
	v_sub_f16_e32 v40, v39, v40
	;; [unrolled: 1-line block ×4, first 2 shown]
	v_fma_f16 v10, v10, 2.0, -v23
	v_fma_f16 v22, v22, 2.0, -v11
	;; [unrolled: 1-line block ×4, first 2 shown]
	v_pack_b32_f16 v5, v18, v5
	v_pack_b32_f16 v8, v21, v8
	;; [unrolled: 1-line block ×4, first 2 shown]
	v_fma_f16 v16, v16, 2.0, -v27
	v_fma_f16 v18, v26, 2.0, -v28
	;; [unrolled: 1-line block ×8, first 2 shown]
	v_pack_b32_f16 v4, v4, v15
	v_pack_b32_f16 v7, v7, v19
	;; [unrolled: 1-line block ×4, first 2 shown]
	ds_store_2addr_b32 v34, v5, v8 offset0:20 offset1:139
	v_pack_b32_f16 v5, v10, v22
	v_pack_b32_f16 v8, v9, v40
	;; [unrolled: 1-line block ×4, first 2 shown]
	ds_store_2addr_b32 v37, v11, v14 offset0:130 offset1:249
	v_pack_b32_f16 v11, v16, v18
	v_pack_b32_f16 v12, v17, v21
	ds_store_2addr_b32 v1, v4, v7 offset0:92 offset1:211
	v_pack_b32_f16 v1, v23, v25
	v_pack_b32_f16 v4, v26, v29
	ds_store_2addr_b32 v33, v15, v6 offset0:56 offset1:175
	ds_store_2addr_b32 v35, v5, v9 offset0:74 offset1:193
	;; [unrolled: 1-line block ×3, first 2 shown]
	ds_store_2addr_b32 v20, v11, v12 offset1:119
	ds_store_2addr_b32 v38, v1, v4 offset0:110 offset1:229
	global_wb scope:SCOPE_SE
	s_wait_dscnt 0x0
	s_barrier_signal -1
	s_barrier_wait -1
	global_inv scope:SCOPE_SE
	s_and_saveexec_b32 s0, vcc_lo
	s_cbranch_execz .LBB0_25
; %bb.24:
	v_dual_mov_b32 v1, 0 :: v_dual_add_nc_u32 v6, 0x77, v0
	v_add_co_u32 v31, vcc_lo, s8, v2
	s_wait_alu 0xfffd
	v_add_co_ci_u32_e32 v32, vcc_lo, s9, v3, vcc_lo
	s_delay_alu instid0(VALU_DEP_3) | instskip(SKIP_3) | instid1(VALU_DEP_4)
	v_dual_mov_b32 v7, v1 :: v_dual_add_nc_u32 v8, 0xee, v0
	v_lshlrev_b64_e32 v[2:3], 2, v[0:1]
	v_lshl_add_u32 v30, v0, 2, 0
	v_mov_b32_e32 v9, v1
	v_lshlrev_b64_e32 v[6:7], 2, v[6:7]
	v_dual_mov_b32 v11, v1 :: v_dual_add_nc_u32 v10, 0x165, v0
	v_add_co_u32 v2, vcc_lo, v31, v2
	v_add_nc_u32_e32 v12, 0x200, v30
	v_lshlrev_b64_e32 v[8:9], 2, v[8:9]
	v_dual_mov_b32 v15, v1 :: v_dual_add_nc_u32 v14, 0x1dc, v0
	s_wait_alu 0xfffd
	v_add_co_ci_u32_e32 v3, vcc_lo, v32, v3, vcc_lo
	v_dual_mov_b32 v19, v1 :: v_dual_add_nc_u32 v16, 0x600, v30
	ds_load_2addr_b32 v[4:5], v30 offset1:119
	v_add_co_u32 v6, vcc_lo, v31, v6
	v_lshlrev_b64_e32 v[10:11], 2, v[10:11]
	v_dual_mov_b32 v21, v1 :: v_dual_add_nc_u32 v18, 0x253, v0
	v_dual_mov_b32 v27, v1 :: v_dual_add_nc_u32 v24, 0xa00, v30
	s_wait_alu 0xfffd
	v_add_co_ci_u32_e32 v7, vcc_lo, v32, v7, vcc_lo
	ds_load_2addr_b32 v[12:13], v12 offset0:110 offset1:229
	v_add_co_u32 v8, vcc_lo, v31, v8
	v_lshlrev_b64_e32 v[14:15], 2, v[14:15]
	ds_load_2addr_b32 v[16:17], v16 offset0:92 offset1:211
	v_dual_mov_b32 v23, v1 :: v_dual_add_nc_u32 v20, 0x2ca, v0
	s_wait_alu 0xfffd
	v_add_co_ci_u32_e32 v9, vcc_lo, v32, v9, vcc_lo
	v_add_co_u32 v10, vcc_lo, v31, v10
	v_lshlrev_b64_e32 v[18:19], 2, v[18:19]
	ds_load_2addr_b32 v[24:25], v24 offset0:74 offset1:193
	v_dual_mov_b32 v29, v1 :: v_dual_add_nc_u32 v22, 0x341, v0
	s_wait_alu 0xfffd
	v_add_co_ci_u32_e32 v11, vcc_lo, v32, v11, vcc_lo
	v_add_co_u32 v14, vcc_lo, v31, v14
	v_lshlrev_b64_e32 v[20:21], 2, v[20:21]
	s_wait_alu 0xfffd
	v_add_co_ci_u32_e32 v15, vcc_lo, v32, v15, vcc_lo
	v_add_co_u32 v18, vcc_lo, v31, v18
	v_lshlrev_b64_e32 v[22:23], 2, v[22:23]
	s_wait_alu 0xfffd
	v_add_co_ci_u32_e32 v19, vcc_lo, v32, v19, vcc_lo
	v_add_co_u32 v20, vcc_lo, v31, v20
	v_add_nc_u32_e32 v26, 0x3b8, v0
	s_wait_alu 0xfffd
	v_add_co_ci_u32_e32 v21, vcc_lo, v32, v21, vcc_lo
	v_add_co_u32 v22, vcc_lo, v31, v22
	v_add_nc_u32_e32 v28, 0x42f, v0
	s_wait_alu 0xfffd
	v_add_co_ci_u32_e32 v23, vcc_lo, v32, v23, vcc_lo
	s_wait_dscnt 0x3
	s_clause 0x1
	global_store_b32 v[2:3], v4, off
	global_store_b32 v[6:7], v5, off
	s_wait_dscnt 0x2
	s_clause 0x1
	global_store_b32 v[8:9], v12, off
	global_store_b32 v[10:11], v13, off
	;; [unrolled: 4-line block ×4, first 2 shown]
	v_mov_b32_e32 v13, v1
	v_mov_b32_e32 v9, v1
	v_lshlrev_b64_e32 v[2:3], 2, v[26:27]
	v_dual_mov_b32 v15, v1 :: v_dual_add_nc_u32 v8, 0x4a6, v0
	v_lshlrev_b64_e32 v[6:7], 2, v[28:29]
	v_add_nc_u32_e32 v33, 0xe00, v30
	v_dual_mov_b32 v21, v1 :: v_dual_add_nc_u32 v12, 0x51d, v0
	v_add_co_u32 v2, vcc_lo, v31, v2
	v_dual_mov_b32 v17, v1 :: v_dual_add_nc_u32 v10, 0x1200, v30
	v_lshlrev_b64_e32 v[8:9], 2, v[8:9]
	v_add_nc_u32_e32 v14, 0x594, v0
	s_wait_alu 0xfffd
	v_add_co_ci_u32_e32 v3, vcc_lo, v32, v3, vcc_lo
	v_add_nc_u32_e32 v18, 0x1600, v30
	ds_load_2addr_b32 v[4:5], v33 offset0:56 offset1:175
	v_add_co_u32 v6, vcc_lo, v31, v6
	v_lshlrev_b64_e32 v[12:13], 2, v[12:13]
	v_add_nc_u32_e32 v16, 0x60b, v0
	v_add_nc_u32_e32 v22, 0x1800, v30
	s_wait_alu 0xfffd
	v_add_co_ci_u32_e32 v7, vcc_lo, v32, v7, vcc_lo
	ds_load_2addr_b32 v[10:11], v10 offset0:38 offset1:157
	v_add_co_u32 v8, vcc_lo, v31, v8
	v_lshlrev_b64_e32 v[14:15], 2, v[14:15]
	ds_load_2addr_b32 v[18:19], v18 offset0:20 offset1:139
	v_add_nc_u32_e32 v20, 0x682, v0
	s_wait_alu 0xfffd
	v_add_co_ci_u32_e32 v9, vcc_lo, v32, v9, vcc_lo
	v_add_co_u32 v12, vcc_lo, v31, v12
	v_lshlrev_b64_e32 v[16:17], 2, v[16:17]
	ds_load_2addr_b32 v[22:23], v22 offset0:130 offset1:249
	v_add_nc_u32_e32 v0, 0x6f9, v0
	s_wait_alu 0xfffd
	v_add_co_ci_u32_e32 v13, vcc_lo, v32, v13, vcc_lo
	v_add_co_u32 v14, vcc_lo, v31, v14
	v_lshlrev_b64_e32 v[20:21], 2, v[20:21]
	s_wait_alu 0xfffd
	v_add_co_ci_u32_e32 v15, vcc_lo, v32, v15, vcc_lo
	v_add_co_u32 v16, vcc_lo, v31, v16
	v_lshlrev_b64_e32 v[0:1], 2, v[0:1]
	s_wait_alu 0xfffd
	v_add_co_ci_u32_e32 v17, vcc_lo, v32, v17, vcc_lo
	v_add_co_u32 v20, vcc_lo, v31, v20
	s_wait_alu 0xfffd
	v_add_co_ci_u32_e32 v21, vcc_lo, v32, v21, vcc_lo
	v_add_co_u32 v0, vcc_lo, v31, v0
	s_wait_alu 0xfffd
	v_add_co_ci_u32_e32 v1, vcc_lo, v32, v1, vcc_lo
	s_wait_dscnt 0x3
	s_clause 0x1
	global_store_b32 v[2:3], v4, off
	global_store_b32 v[6:7], v5, off
	s_wait_dscnt 0x2
	s_clause 0x1
	global_store_b32 v[8:9], v10, off
	global_store_b32 v[12:13], v11, off
	;; [unrolled: 4-line block ×4, first 2 shown]
.LBB0_25:
	s_nop 0
	s_sendmsg sendmsg(MSG_DEALLOC_VGPRS)
	s_endpgm
	.section	.rodata,"a",@progbits
	.p2align	6, 0x0
	.amdhsa_kernel fft_rtc_fwd_len1904_factors_17_2_2_7_4_wgs_119_tpt_119_halfLds_half_ip_CI_unitstride_sbrr_C2R_dirReg
		.amdhsa_group_segment_fixed_size 0
		.amdhsa_private_segment_fixed_size 0
		.amdhsa_kernarg_size 88
		.amdhsa_user_sgpr_count 2
		.amdhsa_user_sgpr_dispatch_ptr 0
		.amdhsa_user_sgpr_queue_ptr 0
		.amdhsa_user_sgpr_kernarg_segment_ptr 1
		.amdhsa_user_sgpr_dispatch_id 0
		.amdhsa_user_sgpr_private_segment_size 0
		.amdhsa_wavefront_size32 1
		.amdhsa_uses_dynamic_stack 0
		.amdhsa_enable_private_segment 0
		.amdhsa_system_sgpr_workgroup_id_x 1
		.amdhsa_system_sgpr_workgroup_id_y 0
		.amdhsa_system_sgpr_workgroup_id_z 0
		.amdhsa_system_sgpr_workgroup_info 0
		.amdhsa_system_vgpr_workitem_id 0
		.amdhsa_next_free_vgpr 154
		.amdhsa_next_free_sgpr 32
		.amdhsa_reserve_vcc 1
		.amdhsa_float_round_mode_32 0
		.amdhsa_float_round_mode_16_64 0
		.amdhsa_float_denorm_mode_32 3
		.amdhsa_float_denorm_mode_16_64 3
		.amdhsa_fp16_overflow 0
		.amdhsa_workgroup_processor_mode 1
		.amdhsa_memory_ordered 1
		.amdhsa_forward_progress 0
		.amdhsa_round_robin_scheduling 0
		.amdhsa_exception_fp_ieee_invalid_op 0
		.amdhsa_exception_fp_denorm_src 0
		.amdhsa_exception_fp_ieee_div_zero 0
		.amdhsa_exception_fp_ieee_overflow 0
		.amdhsa_exception_fp_ieee_underflow 0
		.amdhsa_exception_fp_ieee_inexact 0
		.amdhsa_exception_int_div_zero 0
	.end_amdhsa_kernel
	.text
.Lfunc_end0:
	.size	fft_rtc_fwd_len1904_factors_17_2_2_7_4_wgs_119_tpt_119_halfLds_half_ip_CI_unitstride_sbrr_C2R_dirReg, .Lfunc_end0-fft_rtc_fwd_len1904_factors_17_2_2_7_4_wgs_119_tpt_119_halfLds_half_ip_CI_unitstride_sbrr_C2R_dirReg
                                        ; -- End function
	.section	.AMDGPU.csdata,"",@progbits
; Kernel info:
; codeLenInByte = 16328
; NumSgprs: 34
; NumVgprs: 154
; ScratchSize: 0
; MemoryBound: 0
; FloatMode: 240
; IeeeMode: 1
; LDSByteSize: 0 bytes/workgroup (compile time only)
; SGPRBlocks: 4
; VGPRBlocks: 19
; NumSGPRsForWavesPerEU: 34
; NumVGPRsForWavesPerEU: 154
; Occupancy: 9
; WaveLimiterHint : 1
; COMPUTE_PGM_RSRC2:SCRATCH_EN: 0
; COMPUTE_PGM_RSRC2:USER_SGPR: 2
; COMPUTE_PGM_RSRC2:TRAP_HANDLER: 0
; COMPUTE_PGM_RSRC2:TGID_X_EN: 1
; COMPUTE_PGM_RSRC2:TGID_Y_EN: 0
; COMPUTE_PGM_RSRC2:TGID_Z_EN: 0
; COMPUTE_PGM_RSRC2:TIDIG_COMP_CNT: 0
	.text
	.p2alignl 7, 3214868480
	.fill 96, 4, 3214868480
	.type	__hip_cuid_797f19998a393ec2,@object ; @__hip_cuid_797f19998a393ec2
	.section	.bss,"aw",@nobits
	.globl	__hip_cuid_797f19998a393ec2
__hip_cuid_797f19998a393ec2:
	.byte	0                               ; 0x0
	.size	__hip_cuid_797f19998a393ec2, 1

	.ident	"AMD clang version 19.0.0git (https://github.com/RadeonOpenCompute/llvm-project roc-6.4.0 25133 c7fe45cf4b819c5991fe208aaa96edf142730f1d)"
	.section	".note.GNU-stack","",@progbits
	.addrsig
	.addrsig_sym __hip_cuid_797f19998a393ec2
	.amdgpu_metadata
---
amdhsa.kernels:
  - .args:
      - .actual_access:  read_only
        .address_space:  global
        .offset:         0
        .size:           8
        .value_kind:     global_buffer
      - .offset:         8
        .size:           8
        .value_kind:     by_value
      - .actual_access:  read_only
        .address_space:  global
        .offset:         16
        .size:           8
        .value_kind:     global_buffer
      - .actual_access:  read_only
        .address_space:  global
        .offset:         24
        .size:           8
        .value_kind:     global_buffer
      - .offset:         32
        .size:           8
        .value_kind:     by_value
      - .actual_access:  read_only
        .address_space:  global
        .offset:         40
        .size:           8
        .value_kind:     global_buffer
      - .actual_access:  read_only
        .address_space:  global
        .offset:         48
        .size:           8
        .value_kind:     global_buffer
      - .offset:         56
        .size:           4
        .value_kind:     by_value
      - .actual_access:  read_only
        .address_space:  global
        .offset:         64
        .size:           8
        .value_kind:     global_buffer
      - .actual_access:  read_only
        .address_space:  global
        .offset:         72
        .size:           8
        .value_kind:     global_buffer
      - .address_space:  global
        .offset:         80
        .size:           8
        .value_kind:     global_buffer
    .group_segment_fixed_size: 0
    .kernarg_segment_align: 8
    .kernarg_segment_size: 88
    .language:       OpenCL C
    .language_version:
      - 2
      - 0
    .max_flat_workgroup_size: 119
    .name:           fft_rtc_fwd_len1904_factors_17_2_2_7_4_wgs_119_tpt_119_halfLds_half_ip_CI_unitstride_sbrr_C2R_dirReg
    .private_segment_fixed_size: 0
    .sgpr_count:     34
    .sgpr_spill_count: 0
    .symbol:         fft_rtc_fwd_len1904_factors_17_2_2_7_4_wgs_119_tpt_119_halfLds_half_ip_CI_unitstride_sbrr_C2R_dirReg.kd
    .uniform_work_group_size: 1
    .uses_dynamic_stack: false
    .vgpr_count:     154
    .vgpr_spill_count: 0
    .wavefront_size: 32
    .workgroup_processor_mode: 1
amdhsa.target:   amdgcn-amd-amdhsa--gfx1201
amdhsa.version:
  - 1
  - 2
...

	.end_amdgpu_metadata
